;; amdgpu-corpus repo=ROCm/rocFFT kind=compiled arch=gfx950 opt=O3
	.text
	.amdgcn_target "amdgcn-amd-amdhsa--gfx950"
	.amdhsa_code_object_version 6
	.protected	bluestein_single_fwd_len1089_dim1_sp_op_CI_CI ; -- Begin function bluestein_single_fwd_len1089_dim1_sp_op_CI_CI
	.globl	bluestein_single_fwd_len1089_dim1_sp_op_CI_CI
	.p2align	8
	.type	bluestein_single_fwd_len1089_dim1_sp_op_CI_CI,@function
bluestein_single_fwd_len1089_dim1_sp_op_CI_CI: ; @bluestein_single_fwd_len1089_dim1_sp_op_CI_CI
; %bb.0:
	s_load_dwordx4 s[12:15], s[0:1], 0x28
	v_mul_u32_u24_e32 v1, 0x21e, v0
	v_mov_b32_e32 v77, 0
	v_add_u32_sdwa v84, s2, v1 dst_sel:DWORD dst_unused:UNUSED_PAD src0_sel:DWORD src1_sel:WORD_1
	v_mov_b32_e32 v85, v77
	s_waitcnt lgkmcnt(0)
	v_cmp_gt_u64_e32 vcc, s[12:13], v[84:85]
	s_and_saveexec_b64 s[2:3], vcc
	s_cbranch_execz .LBB0_18
; %bb.1:
	s_load_dwordx4 s[4:7], s[0:1], 0x18
	s_load_dwordx4 s[8:11], s[0:1], 0x0
	v_mov_b32_e32 v2, s14
	v_mov_b32_e32 v3, s15
	s_movk_i32 s2, 0x79
	s_waitcnt lgkmcnt(0)
	s_load_dwordx4 s[12:15], s[4:5], 0x0
	v_mul_lo_u16_sdwa v1, v1, s2 dst_sel:DWORD dst_unused:UNUSED_PAD src0_sel:WORD_1 src1_sel:DWORD
	v_sub_u16_e32 v76, v0, v1
	v_mov_b32_e32 v20, 0xb58
	v_lshlrev_b32_e32 v72, 3, v76
	s_waitcnt lgkmcnt(0)
	v_mad_u64_u32 v[0:1], s[2:3], s14, v84, 0
	v_mov_b32_e32 v4, v1
	v_mad_u64_u32 v[4:5], s[2:3], s15, v84, v[4:5]
	v_mov_b32_e32 v1, v4
	v_mad_u64_u32 v[4:5], s[2:3], s12, v76, 0
	v_mov_b32_e32 v6, v5
	v_mad_u64_u32 v[6:7], s[2:3], s13, v76, v[6:7]
	v_mov_b32_e32 v5, v6
	v_lshl_add_u64 v[0:1], v[0:1], 3, v[2:3]
	v_lshl_add_u64 v[0:1], v[4:5], 3, v[0:1]
	global_load_dwordx2 v[2:3], v[0:1], off
	v_mad_u64_u32 v[0:1], s[2:3], s12, v20, v[0:1]
	s_mul_i32 s4, s13, 0xb58
	v_add_u32_e32 v1, s4, v1
	v_mov_b32_e32 v73, v77
	v_mad_u64_u32 v[6:7], s[2:3], s12, v20, v[0:1]
	v_lshl_add_u64 v[4:5], s[8:9], 0, v[72:73]
	s_movk_i32 s2, 0x1000
	global_load_dwordx2 v[94:95], v72, s[8:9]
	global_load_dwordx2 v[92:93], v72, s[8:9] offset:2904
	v_add_u32_e32 v7, s4, v7
	global_load_dwordx2 v[8:9], v[0:1], off
	global_load_dwordx2 v[10:11], v[6:7], off
	v_add_co_u32_e32 v0, vcc, s2, v4
	v_mov_b32_e32 v16, 0xffffed18
	s_nop 0
	v_addc_co_u32_e32 v1, vcc, 0, v5, vcc
	v_mad_u64_u32 v[4:5], s[2:3], s12, v16, v[6:7]
	s_mul_i32 s2, s13, 0xffffed18
	s_sub_i32 s5, s2, s12
	v_add_u32_e32 v5, s5, v5
	v_mad_u64_u32 v[6:7], s[2:3], s12, v20, v[4:5]
	global_load_dwordx2 v[88:89], v[0:1], off offset:1712
	global_load_dwordx2 v[90:91], v72, s[8:9] offset:968
	v_add_u32_e32 v7, s4, v7
	global_load_dwordx2 v[12:13], v[4:5], off
	global_load_dwordx2 v[14:15], v[6:7], off
	global_load_dwordx2 v[82:83], v72, s[8:9] offset:3872
	v_mad_u64_u32 v[4:5], s[2:3], s12, v20, v[6:7]
	v_add_u32_e32 v5, s4, v5
	global_load_dwordx2 v[6:7], v[4:5], off
	global_load_dwordx2 v[80:81], v[0:1], off offset:2680
	v_mad_u64_u32 v[4:5], s[2:3], s12, v16, v[4:5]
	v_add_u32_e32 v5, s5, v5
	global_load_dwordx2 v[16:17], v[4:5], off
	global_load_dwordx2 v[78:79], v72, s[8:9] offset:1936
	v_mad_u64_u32 v[4:5], s[2:3], s12, v20, v[4:5]
	v_add_u32_e32 v5, s4, v5
	global_load_dwordx2 v[18:19], v[4:5], off
	global_load_dwordx2 v[74:75], v[0:1], off offset:3648
	global_load_dwordx2 v[86:87], v[0:1], off offset:744
	v_mad_u64_u32 v[0:1], s[2:3], s12, v20, v[4:5]
	v_add_u32_e32 v1, s4, v1
	global_load_dwordx2 v[0:1], v[0:1], off
	s_load_dwordx4 s[4:7], s[6:7], 0x0
	s_mov_b64 s[2:3], 0x79
	v_lshl_add_u64 v[40:41], v[76:77], 0, s[2:3]
	s_mov_b64 s[2:3], 0xf2
	v_lshl_add_u64 v[42:43], v[76:77], 0, s[2:3]
	s_mov_b32 s2, 0x3f5db3d7
	s_load_dwordx2 s[12:13], s[0:1], 0x38
	s_movk_i32 s0, 0x63
	v_cmp_gt_u16_e32 vcc, s0, v76
	s_movk_i32 s0, 0x62
	v_cmp_lt_u16_e64 s[0:1], s0, v76
	s_waitcnt vmcnt(16)
	v_mul_f32_e32 v4, v3, v95
	v_mul_f32_e32 v5, v2, v95
	v_fmac_f32_e32 v4, v2, v94
	v_fma_f32 v5, v3, v94, -v5
	s_waitcnt vmcnt(14)
	v_mul_f32_e32 v2, v9, v93
	v_mul_f32_e32 v3, v8, v93
	v_fmac_f32_e32 v2, v8, v92
	v_fma_f32 v3, v9, v92, -v3
	ds_write_b64 v72, v[2:3] offset:2904
	v_add_u32_e32 v8, 0x1400, v72
	s_waitcnt vmcnt(12)
	v_mul_f32_e32 v2, v11, v89
	v_mul_f32_e32 v3, v10, v89
	v_fmac_f32_e32 v2, v10, v88
	v_fma_f32 v3, v11, v88, -v3
	ds_write_b64 v72, v[2:3] offset:5808
	s_waitcnt vmcnt(10)
	v_mul_f32_e32 v2, v13, v91
	v_mul_f32_e32 v3, v12, v91
	v_fmac_f32_e32 v2, v12, v90
	v_fma_f32 v3, v13, v90, -v3
	ds_write2_b64 v72, v[4:5], v[2:3] offset1:121
	s_waitcnt vmcnt(6)
	v_mul_f32_e32 v4, v7, v81
	v_mul_f32_e32 v5, v6, v81
	v_fmac_f32_e32 v4, v6, v80
	v_fma_f32 v5, v7, v80, -v5
	s_waitcnt vmcnt(4)
	v_mul_f32_e32 v6, v17, v79
	v_mul_f32_e32 v7, v16, v79
	v_fmac_f32_e32 v6, v16, v78
	v_fma_f32 v7, v17, v78, -v7
	v_mul_f32_e32 v2, v15, v83
	v_mul_f32_e32 v3, v14, v83
	ds_write_b64 v72, v[6:7] offset:1936
	s_waitcnt vmcnt(1)
	v_mul_f32_e32 v6, v19, v87
	v_mul_f32_e32 v7, v18, v87
	v_fmac_f32_e32 v2, v14, v82
	v_fma_f32 v3, v15, v82, -v3
	v_fmac_f32_e32 v6, v18, v86
	v_fma_f32 v7, v19, v86, -v7
	v_add_u32_e32 v14, 0xc00, v72
	ds_write2_b64 v14, v[2:3], v[6:7] offset0:100 offset1:221
	s_waitcnt vmcnt(0)
	v_mul_f32_e32 v2, v1, v75
	v_fmac_f32_e32 v2, v0, v74
	v_mul_f32_e32 v0, v0, v75
	v_fma_f32 v3, v1, v74, -v0
	v_add_u32_e32 v0, 0x1800, v72
	ds_write2_b64 v0, v[4:5], v[2:3] offset0:79 offset1:200
	v_add_u32_e32 v4, 0x400, v72
	s_waitcnt lgkmcnt(0)
	s_barrier
	ds_read2_b64 v[0:3], v72 offset1:121
	ds_read2_b64 v[4:7], v4 offset0:114 offset1:235
	ds_read2_b64 v[8:11], v8 offset0:86 offset1:207
	s_waitcnt lgkmcnt(1)
	v_pk_add_f32 v[12:13], v[0:1], v[6:7]
	s_waitcnt lgkmcnt(0)
	v_pk_add_f32 v[20:21], v[12:13], v[8:9]
	v_pk_add_f32 v[12:13], v[6:7], v[8:9]
	s_nop 0
	v_pk_fma_f32 v[0:1], v[12:13], 0.5, v[0:1] op_sel_hi:[1,0,1] neg_lo:[1,0,0] neg_hi:[1,0,0]
	v_pk_add_f32 v[12:13], v[6:7], v[8:9] neg_lo:[0,1] neg_hi:[0,1]
	ds_read2_b64 v[6:9], v14 offset0:100 offset1:221
	v_pk_mul_f32 v[12:13], v[12:13], s[2:3] op_sel_hi:[1,0]
	s_nop 0
	v_pk_add_f32 v[24:25], v[0:1], v[12:13] op_sel:[0,1] op_sel_hi:[1,0] neg_lo:[0,1] neg_hi:[0,1]
	v_pk_add_f32 v[44:45], v[12:13], v[0:1] op_sel:[1,0] op_sel_hi:[0,1]
	s_waitcnt lgkmcnt(0)
	v_pk_add_f32 v[0:1], v[6:7], v[10:11]
	v_pk_add_f32 v[12:13], v[6:7], v[10:11] neg_lo:[0,1] neg_hi:[0,1]
	v_pk_fma_f32 v[0:1], v[0:1], 0.5, v[2:3] op_sel_hi:[1,0,1] neg_lo:[1,0,0] neg_hi:[1,0,0]
	v_pk_add_f32 v[2:3], v[2:3], v[6:7]
	ds_read_b64 v[6:7], v72 offset:7744
	v_pk_mul_f32 v[12:13], v[12:13], s[2:3] op_sel_hi:[1,0]
	v_pk_add_f32 v[22:23], v[2:3], v[10:11]
	v_pk_add_f32 v[30:31], v[0:1], v[12:13] op_sel:[0,1] op_sel_hi:[1,0] neg_lo:[0,1] neg_hi:[0,1]
	v_pk_add_f32 v[46:47], v[12:13], v[0:1] op_sel:[1,0] op_sel_hi:[0,1]
	v_pk_add_f32 v[0:1], v[4:5], v[8:9]
	s_waitcnt lgkmcnt(0)
	v_pk_add_f32 v[2:3], v[8:9], v[6:7]
	v_pk_add_f32 v[32:33], v[0:1], v[6:7]
	v_pk_add_f32 v[0:1], v[8:9], v[6:7] neg_lo:[0,1] neg_hi:[0,1]
	v_pk_fma_f32 v[2:3], v[2:3], 0.5, v[4:5] op_sel_hi:[1,0,1] neg_lo:[1,0,0] neg_hi:[1,0,0]
	v_pk_mul_f32 v[0:1], v[0:1], s[2:3] op_sel_hi:[1,0]
	s_nop 0
	v_pk_add_f32 v[36:37], v[2:3], v[0:1] op_sel:[0,1] op_sel_hi:[1,0] neg_lo:[0,1] neg_hi:[0,1]
	v_pk_add_f32 v[48:49], v[2:3], v[0:1] op_sel:[0,1] op_sel_hi:[1,0]
	v_mul_lo_u16_e32 v0, 3, v76
	v_lshlrev_b32_e32 v77, 3, v0
	v_mov_b32_e32 v0, v44
	v_mov_b32_e32 v1, v25
	s_barrier
	ds_write2_b64 v77, v[20:21], v[0:1] offset1:1
	v_mov_b32_e32 v0, v24
	v_mov_b32_e32 v1, v45
	ds_write_b64 v77, v[0:1] offset:16
	v_mul_u32_u24_e32 v0, 3, v40
	v_lshlrev_b32_e32 v85, 3, v0
	v_mov_b32_e32 v0, v46
	v_mov_b32_e32 v1, v31
	ds_write2_b64 v85, v[22:23], v[0:1] offset1:1
	v_mov_b32_e32 v0, v30
	v_mov_b32_e32 v1, v47
	ds_write_b64 v85, v[0:1] offset:16
	v_mul_u32_u24_e32 v0, 3, v42
	v_lshlrev_b32_e32 v162, 3, v0
	v_mov_b32_e32 v0, v48
	v_mov_b32_e32 v1, v37
	ds_write2_b64 v162, v[32:33], v[0:1] offset1:1
	v_mov_b32_e32 v0, v36
	v_mov_b32_e32 v1, v49
	ds_write_b64 v162, v[0:1] offset:16
	s_waitcnt lgkmcnt(0)
	s_barrier
	s_and_saveexec_b64 s[2:3], s[0:1]
	s_xor_b64 s[2:3], exec, s[2:3]
	s_or_saveexec_b64 s[2:3], s[2:3]
                                        ; implicit-def: $vgpr26
                                        ; implicit-def: $vgpr50
                                        ; implicit-def: $vgpr28
	s_xor_b64 exec, exec, s[2:3]
	s_cbranch_execz .LBB0_3
; %bb.2:
	v_add_u32_e32 v2, 0x1000, v72
	ds_read2_b64 v[32:35], v2 offset0:82 offset1:181
	v_add_u32_e32 v2, 0x1800, v72
	ds_read2_b64 v[20:23], v72 offset1:99
	v_add_u32_e32 v0, 0x400, v72
	v_add_u32_e32 v1, 0x800, v72
	ds_read2_b64 v[36:39], v2 offset0:24 offset1:123
	ds_read2_b64 v[28:31], v1 offset0:140 offset1:239
	;; [unrolled: 1-line block ×3, first 2 shown]
	ds_read_b64 v[50:51], v72 offset:7920
	s_waitcnt lgkmcnt(5)
	v_mov_b32_e32 v48, v34
	s_waitcnt lgkmcnt(3)
	v_mov_b32_e32 v49, v37
	;; [unrolled: 2-line block ×3, first 2 shown]
	v_mov_b32_e32 v47, v31
	v_mov_b32_e32 v44, v22
	s_waitcnt lgkmcnt(1)
	v_mov_b32_e32 v45, v25
	v_mov_b32_e32 v37, v35
	v_mov_b32_e32 v31, v29
	v_mov_b32_e32 v25, v23
	v_mov_b64_e32 v[22:23], v[26:27]
	v_mov_b32_e32 v26, v39
	s_waitcnt lgkmcnt(0)
	v_mov_b32_e32 v28, v51
.LBB0_3:
	s_or_b64 exec, exec, s[2:3]
	s_movk_i32 s2, 0xab
	v_mul_lo_u16_sdwa v0, v76, s2 dst_sel:DWORD dst_unused:UNUSED_PAD src0_sel:BYTE_0 src1_sel:DWORD
	v_lshrrev_b16_e32 v41, 9, v0
	v_mul_lo_u16_e32 v0, 3, v41
	v_sub_u16_e32 v0, v76, v0
	v_and_b32_e32 v73, 0xff, v0
	v_mul_u32_u24_e32 v0, 10, v73
	v_lshlrev_b32_e32 v27, 3, v0
	global_load_dwordx4 v[8:11], v27, s[10:11]
	global_load_dwordx4 v[4:7], v27, s[10:11] offset:16
	global_load_dwordx4 v[0:3], v27, s[10:11] offset:32
	;; [unrolled: 1-line block ×4, first 2 shown]
	s_mov_b32 s30, 0xbf68dda4
	s_mov_b32 s2, 0x3ed4b147
	;; [unrolled: 1-line block ×13, first 2 shown]
	v_mul_u32_u24_e32 v166, 33, v41
	s_barrier
	s_waitcnt vmcnt(4)
	v_pk_mul_f32 v[54:55], v[24:25], v[8:9] op_sel:[1,0]
	v_pk_mul_f32 v[34:35], v[44:45], v[10:11] op_sel:[1,0]
	s_waitcnt vmcnt(2)
	v_pk_mul_f32 v[52:53], v[46:47], v[0:1] op_sel:[1,0]
	s_waitcnt vmcnt(1)
	v_pk_mul_f32 v[26:27], v[26:27], v[12:13] op_sel_hi:[0,1]
	s_waitcnt vmcnt(0)
	v_pk_mul_f32 v[62:63], v[48:49], v[18:19] op_sel:[1,0]
	v_pk_mul_f32 v[28:29], v[28:29], v[14:15] op_sel_hi:[0,1]
	v_pk_mul_f32 v[66:67], v[30:31], v[6:7] op_sel:[1,0]
	v_pk_mul_f32 v[68:69], v[36:37], v[16:17] op_sel:[1,0]
	v_pk_fma_f32 v[58:59], v[24:25], v[10:11], v[34:35] op_sel:[0,0,1] op_sel_hi:[1,1,0] neg_lo:[0,0,1] neg_hi:[0,0,1]
	v_pk_fma_f32 v[24:25], v[24:25], v[10:11], v[34:35] op_sel:[0,0,1] op_sel_hi:[0,1,0]
	v_pk_fma_f32 v[34:35], v[30:31], v[0:1], v[52:53] op_sel:[0,0,1] op_sel_hi:[1,1,0] neg_lo:[0,0,1] neg_hi:[0,0,1]
	v_pk_fma_f32 v[30:31], v[30:31], v[0:1], v[52:53] op_sel:[0,0,1] op_sel_hi:[0,1,0]
	;; [unrolled: 2-line block ×6, first 2 shown]
	v_pk_mul_f32 v[60:61], v[32:33], v[2:3] op_sel:[1,0]
	v_pk_mul_f32 v[64:65], v[22:23], v[4:5] op_sel:[1,0]
	v_mov_b32_e32 v63, v55
	v_mov_b32_e32 v39, v29
	v_pk_fma_f32 v[56:57], v[32:33], v[2:3], v[60:61] op_sel:[0,0,1] op_sel_hi:[1,1,0] neg_lo:[0,0,1] neg_hi:[0,0,1]
	v_pk_fma_f32 v[32:33], v[32:33], v[2:3], v[60:61] op_sel:[0,0,1] op_sel_hi:[0,1,0]
	v_pk_fma_f32 v[60:61], v[22:23], v[4:5], v[64:65] op_sel:[0,0,1] op_sel_hi:[1,1,0] neg_lo:[0,0,1] neg_hi:[0,0,1]
	v_pk_fma_f32 v[22:23], v[22:23], v[4:5], v[64:65] op_sel:[0,0,1] op_sel_hi:[0,1,0]
	v_mov_b32_e32 v59, v25
	v_mov_b32_e32 v37, v27
	v_pk_add_f32 v[104:105], v[62:63], v[38:39] neg_lo:[0,1] neg_hi:[0,1]
	v_mov_b32_e32 v61, v23
	v_mov_b32_e32 v35, v31
	;; [unrolled: 1-line block ×3, first 2 shown]
	v_pk_add_f32 v[30:31], v[62:63], v[38:39]
	v_pk_add_f32 v[106:107], v[58:59], v[36:37] neg_lo:[0,1] neg_hi:[0,1]
	v_pk_mul_f32 v[22:23], v[104:105], s[30:31] op_sel:[1,0] op_sel_hi:[0,0]
	v_pk_fma_f32 v[64:65], v[46:47], v[6:7], v[66:67] op_sel:[0,0,1] op_sel_hi:[1,1,0] neg_lo:[0,0,1] neg_hi:[0,0,1]
	v_pk_fma_f32 v[46:47], v[46:47], v[6:7], v[66:67] op_sel:[0,0,1] op_sel_hi:[0,1,0]
	v_mov_b32_e32 v57, v33
	v_pk_add_f32 v[28:29], v[58:59], v[36:37]
	v_pk_add_f32 v[108:109], v[60:61], v[52:53] neg_lo:[0,1] neg_hi:[0,1]
	v_pk_mul_f32 v[32:33], v[106:107], s[16:17] op_sel:[1,0] op_sel_hi:[0,0]
	v_pk_fma_f32 v[98:99], v[30:31], s[2:3], v[22:23] op_sel_hi:[1,0,1]
	v_pk_fma_f32 v[100:101], v[30:31], s[2:3], v[22:23] op_sel_hi:[1,0,1] neg_lo:[0,0,1] neg_hi:[0,0,1]
	v_pk_fma_f32 v[44:45], v[48:49], v[16:17], v[68:69] op_sel:[0,0,1] op_sel_hi:[1,1,0] neg_lo:[0,0,1] neg_hi:[0,0,1]
	v_pk_fma_f32 v[48:49], v[48:49], v[16:17], v[68:69] op_sel:[0,0,1] op_sel_hi:[0,1,0]
	v_mov_b32_e32 v65, v47
	v_pk_add_f32 v[26:27], v[60:61], v[52:53]
	v_pk_mul_f32 v[46:47], v[108:109], s[28:29] op_sel:[1,0] op_sel_hi:[0,0]
	v_pk_fma_f32 v[68:69], v[28:29], s[14:15], v[32:33] op_sel_hi:[1,0,1]
	v_pk_fma_f32 v[70:71], v[28:29], s[14:15], v[32:33] op_sel_hi:[1,0,1] neg_lo:[0,0,1] neg_hi:[0,0,1]
	v_mov_b32_e32 v22, v98
	v_mov_b32_e32 v23, v101
	v_pk_mul_f32 v[54:55], v[104:105], s[26:27] op_sel:[1,0] op_sel_hi:[0,0]
	v_pk_fma_f32 v[50:51], v[26:27], s[20:21], v[46:47] op_sel_hi:[1,0,1]
	v_pk_fma_f32 v[66:67], v[26:27], s[20:21], v[46:47] op_sel_hi:[1,0,1] neg_lo:[0,0,1] neg_hi:[0,0,1]
	v_mov_b32_e32 v32, v68
	v_mov_b32_e32 v33, v71
	v_pk_add_f32 v[22:23], v[20:21], v[22:23]
	v_pk_fma_f32 v[102:103], v[30:31], s[22:23], v[54:55] op_sel_hi:[1,0,1]
	v_pk_fma_f32 v[112:113], v[30:31], s[22:23], v[54:55] op_sel_hi:[1,0,1] neg_lo:[0,0,1] neg_hi:[0,0,1]
	v_mov_b32_e32 v54, v50
	v_mov_b32_e32 v55, v67
	v_pk_add_f32 v[22:23], v[32:33], v[22:23]
	v_mov_b32_e32 v114, v102
	v_pk_add_f32 v[22:23], v[54:55], v[22:23]
	v_mov_b32_e32 v115, v113
	v_pk_mul_f32 v[54:55], v[106:107], s[30:31] op_sel:[1,0] op_sel_hi:[0,0]
	v_pk_add_f32 v[32:33], v[20:21], v[114:115]
	v_pk_fma_f32 v[114:115], v[28:29], s[2:3], v[54:55] op_sel_hi:[1,0,1]
	v_pk_fma_f32 v[116:117], v[28:29], s[2:3], v[54:55] op_sel_hi:[1,0,1] neg_lo:[0,0,1] neg_hi:[0,0,1]
	v_mov_b32_e32 v54, v114
	v_mov_b32_e32 v55, v117
	v_pk_add_f32 v[32:33], v[54:55], v[32:33]
	v_pk_mul_f32 v[54:55], v[108:109], s[34:35] op_sel:[1,0] op_sel_hi:[0,0]
	v_mov_b32_e32 v45, v49
	v_pk_fma_f32 v[118:119], v[26:27], s[18:19], v[54:55] op_sel_hi:[1,0,1]
	v_pk_fma_f32 v[120:121], v[26:27], s[18:19], v[54:55] op_sel_hi:[1,0,1] neg_lo:[0,0,1] neg_hi:[0,0,1]
	v_pk_add_f32 v[110:111], v[64:65], v[44:45] neg_lo:[0,1] neg_hi:[0,1]
	v_mov_b32_e32 v54, v118
	v_mov_b32_e32 v55, v121
	v_pk_add_f32 v[24:25], v[64:65], v[44:45]
	v_pk_mul_f32 v[48:49], v[110:111], s[24:25] op_sel:[1,0] op_sel_hi:[0,0]
	v_pk_add_f32 v[32:33], v[54:55], v[32:33]
	v_pk_mul_f32 v[54:55], v[110:111], s[16:17] op_sel:[1,0] op_sel_hi:[0,0]
	v_pk_fma_f32 v[46:47], v[24:25], s[18:19], v[48:49] op_sel_hi:[1,0,1]
	v_pk_fma_f32 v[48:49], v[24:25], s[18:19], v[48:49] op_sel_hi:[1,0,1] neg_lo:[0,0,1] neg_hi:[0,0,1]
	v_pk_fma_f32 v[126:127], v[24:25], s[14:15], v[54:55] op_sel_hi:[1,0,1]
	v_pk_fma_f32 v[128:129], v[24:25], s[14:15], v[54:55] op_sel_hi:[1,0,1] neg_lo:[0,0,1] neg_hi:[0,0,1]
	v_mov_b32_e32 v96, v46
	v_mov_b32_e32 v97, v49
	;; [unrolled: 1-line block ×4, first 2 shown]
	v_pk_add_f32 v[134:135], v[34:35], v[56:57] neg_lo:[0,1] neg_hi:[0,1]
	v_pk_add_f32 v[22:23], v[96:97], v[22:23]
	v_pk_add_f32 v[54:55], v[54:55], v[32:33]
	;; [unrolled: 1-line block ×3, first 2 shown]
	v_pk_mul_f32 v[96:97], v[134:135], s[36:37] op_sel:[1,0] op_sel_hi:[0,0]
	v_pk_fma_f32 v[130:131], v[32:33], s[20:21], v[96:97] op_sel_hi:[1,0,1]
	v_pk_fma_f32 v[132:133], v[32:33], s[20:21], v[96:97] op_sel_hi:[1,0,1] neg_lo:[0,0,1] neg_hi:[0,0,1]
	v_mov_b32_e32 v96, v130
	v_mov_b32_e32 v97, v133
	v_pk_add_f32 v[96:97], v[96:97], v[54:55]
	v_pk_mul_f32 v[54:55], v[134:135], s[38:39] op_sel:[1,0] op_sel_hi:[0,0]
	v_pk_fma_f32 v[122:123], v[32:33], s[22:23], v[54:55] op_sel_hi:[1,0,1]
	v_pk_fma_f32 v[124:125], v[32:33], s[22:23], v[54:55] op_sel_hi:[1,0,1] neg_lo:[0,0,1] neg_hi:[0,0,1]
	v_mov_b32_e32 v54, v122
	v_mov_b32_e32 v55, v125
	v_pk_add_f32 v[54:55], v[54:55], v[22:23]
	v_mov_b32_e32 v23, 0
	s_and_saveexec_b64 s[30:31], vcc
	s_cbranch_execz .LBB0_5
; %bb.4:
	v_pk_add_f32 v[62:63], v[20:21], v[62:63]
	v_mov_b32_e32 v113, v103
	v_pk_add_f32 v[58:59], v[62:63], v[58:59]
	v_mov_b32_e32 v117, v115
	;; [unrolled: 2-line block ×5, first 2 shown]
	v_pk_add_f32 v[34:35], v[34:35], v[56:57]
	v_add_lshl_u32 v22, v166, v73, 3
	v_pk_add_f32 v[34:35], v[34:35], v[44:45]
	v_mov_b32_e32 v101, v99
	v_pk_add_f32 v[34:35], v[34:35], v[52:53]
	v_mov_b32_e32 v136, v105
	v_pk_add_f32 v[34:35], v[34:35], v[36:37]
	v_pk_add_f32 v[36:37], v[20:21], v[112:113]
	;; [unrolled: 1-line block ×4, first 2 shown]
	v_mov_b32_e32 v137, v104
	v_pk_add_f32 v[36:37], v[120:121], v[36:37]
	v_mov_b32_e32 v71, v69
	v_pk_add_f32 v[36:37], v[128:129], v[36:37]
	v_mov_b32_e32 v104, v107
	v_pk_add_f32 v[36:37], v[132:133], v[36:37]
	ds_write2_b64 v22, v[34:35], v[36:37] offset1:3
	v_pk_add_f32 v[34:35], v[20:21], v[100:101]
	v_mov_b32_e32 v105, v106
	v_pk_add_f32 v[34:35], v[70:71], v[34:35]
	v_mov_b32_e32 v67, v51
	v_pk_mul_f32 v[36:37], v[136:137], s[34:35] op_sel_hi:[1,0]
	v_pk_add_f32 v[34:35], v[66:67], v[34:35]
	v_mov_b32_e32 v49, v47
	v_pk_fma_f32 v[38:39], v[30:31], s[18:19], v[36:37] op_sel_hi:[1,0,1] neg_lo:[0,0,1] neg_hi:[0,0,1]
	v_pk_fma_f32 v[36:37], v[30:31], s[18:19], v[36:37] op_sel_hi:[1,0,1]
	v_pk_mul_f32 v[46:47], v[104:105], s[28:29] op_sel_hi:[1,0]
	v_pk_add_f32 v[34:35], v[48:49], v[34:35]
	v_mov_b32_e32 v44, v38
	v_mov_b32_e32 v45, v37
	v_pk_fma_f32 v[48:49], v[28:29], s[20:21], v[46:47] op_sel_hi:[1,0,1] neg_lo:[0,0,1] neg_hi:[0,0,1]
	v_pk_fma_f32 v[46:47], v[28:29], s[20:21], v[46:47] op_sel_hi:[1,0,1]
	v_mov_b32_e32 v106, v109
	v_mov_b32_e32 v107, v108
	v_pk_add_f32 v[44:45], v[20:21], v[44:45]
	v_mov_b32_e32 v50, v48
	v_mov_b32_e32 v51, v47
	s_mov_b32 s28, 0x3f68dda4
	v_pk_add_f32 v[44:45], v[50:51], v[44:45]
	v_pk_mul_f32 v[50:51], v[106:107], s[28:29] op_sel_hi:[1,0]
	v_mov_b32_e32 v108, v111
	v_pk_fma_f32 v[52:53], v[26:27], s[2:3], v[50:51] op_sel_hi:[1,0,1] neg_lo:[0,0,1] neg_hi:[0,0,1]
	v_pk_fma_f32 v[50:51], v[26:27], s[2:3], v[50:51] op_sel_hi:[1,0,1]
	v_mov_b32_e32 v109, v110
	v_mov_b32_e32 v56, v52
	;; [unrolled: 1-line block ×3, first 2 shown]
	v_pk_add_f32 v[44:45], v[56:57], v[44:45]
	v_pk_mul_f32 v[56:57], v[108:109], s[26:27] op_sel_hi:[1,0]
	v_mov_b32_e32 v110, v135
	v_pk_fma_f32 v[58:59], v[24:25], s[22:23], v[56:57] op_sel_hi:[1,0,1] neg_lo:[0,0,1] neg_hi:[0,0,1]
	v_pk_fma_f32 v[56:57], v[24:25], s[22:23], v[56:57] op_sel_hi:[1,0,1]
	v_mov_b32_e32 v111, v134
	v_mov_b32_e32 v60, v58
	;; [unrolled: 1-line block ×3, first 2 shown]
	v_pk_add_f32 v[44:45], v[60:61], v[44:45]
	v_pk_mul_f32 v[60:61], v[110:111], s[16:17] op_sel_hi:[1,0]
	v_mov_b32_e32 v125, v123
	v_pk_fma_f32 v[62:63], v[32:33], s[14:15], v[60:61] op_sel_hi:[1,0,1] neg_lo:[0,0,1] neg_hi:[0,0,1]
	v_pk_fma_f32 v[60:61], v[32:33], s[14:15], v[60:61] op_sel_hi:[1,0,1]
	v_mov_b32_e32 v64, v62
	v_mov_b32_e32 v65, v61
	v_pk_add_f32 v[34:35], v[124:125], v[34:35]
	v_pk_add_f32 v[44:45], v[64:65], v[44:45]
	ds_write2_b64 v22, v[34:35], v[44:45] offset0:6 offset1:9
	v_pk_mul_f32 v[34:35], v[136:137], s[16:17] op_sel_hi:[1,0]
	v_pk_mul_f32 v[66:67], v[104:105], s[24:25] op_sel_hi:[1,0]
	v_pk_fma_f32 v[44:45], v[30:31], s[14:15], v[34:35] op_sel_hi:[1,0,1] neg_lo:[0,0,1] neg_hi:[0,0,1]
	v_pk_fma_f32 v[34:35], v[30:31], s[14:15], v[34:35] op_sel_hi:[1,0,1]
	v_mov_b32_e32 v64, v44
	v_mov_b32_e32 v65, v35
	v_pk_fma_f32 v[68:69], v[28:29], s[18:19], v[66:67] op_sel_hi:[1,0,1] neg_lo:[0,0,1] neg_hi:[0,0,1]
	v_pk_fma_f32 v[66:67], v[28:29], s[18:19], v[66:67] op_sel_hi:[1,0,1]
	v_pk_add_f32 v[64:65], v[20:21], v[64:65]
	v_mov_b32_e32 v70, v68
	v_mov_b32_e32 v71, v67
	v_pk_add_f32 v[64:65], v[70:71], v[64:65]
	v_pk_mul_f32 v[70:71], v[106:107], s[26:27] op_sel_hi:[1,0]
	v_pk_mul_f32 v[104:105], v[104:105], s[38:39] op_sel_hi:[1,0]
	v_pk_fma_f32 v[98:99], v[26:27], s[22:23], v[70:71] op_sel_hi:[1,0,1] neg_lo:[0,0,1] neg_hi:[0,0,1]
	v_pk_fma_f32 v[70:71], v[26:27], s[22:23], v[70:71] op_sel_hi:[1,0,1]
	v_mov_b32_e32 v100, v98
	v_mov_b32_e32 v101, v71
	v_pk_add_f32 v[64:65], v[100:101], v[64:65]
	v_pk_mul_f32 v[100:101], v[108:109], s[36:37] op_sel_hi:[1,0]
	v_pk_fma_f32 v[120:121], v[28:29], s[22:23], v[104:105] op_sel_hi:[1,0,1] neg_lo:[0,0,1] neg_hi:[0,0,1]
	v_pk_fma_f32 v[102:103], v[24:25], s[20:21], v[100:101] op_sel_hi:[1,0,1] neg_lo:[0,0,1] neg_hi:[0,0,1]
	v_pk_fma_f32 v[100:101], v[24:25], s[20:21], v[100:101] op_sel_hi:[1,0,1]
	v_mov_b32_e32 v112, v102
	v_mov_b32_e32 v113, v101
	v_pk_add_f32 v[64:65], v[112:113], v[64:65]
	v_pk_mul_f32 v[112:113], v[110:111], s[28:29] op_sel_hi:[1,0]
	v_pk_fma_f32 v[28:29], v[28:29], s[22:23], v[104:105] op_sel_hi:[1,0,1]
	v_pk_fma_f32 v[114:115], v[32:33], s[2:3], v[112:113] op_sel_hi:[1,0,1] neg_lo:[0,0,1] neg_hi:[0,0,1]
	v_pk_fma_f32 v[112:113], v[32:33], s[2:3], v[112:113] op_sel_hi:[1,0,1]
	v_mov_b32_e32 v116, v114
	v_mov_b32_e32 v117, v113
	v_pk_add_f32 v[64:65], v[116:117], v[64:65]
	v_pk_mul_f32 v[116:117], v[136:137], s[36:37] op_sel_hi:[1,0]
	v_mov_b32_e32 v104, v120
	v_pk_fma_f32 v[118:119], v[30:31], s[20:21], v[116:117] op_sel_hi:[1,0,1] neg_lo:[0,0,1] neg_hi:[0,0,1]
	v_pk_fma_f32 v[30:31], v[30:31], s[20:21], v[116:117] op_sel_hi:[1,0,1]
	v_mov_b32_e32 v116, v118
	v_mov_b32_e32 v117, v31
	v_pk_add_f32 v[116:117], v[20:21], v[116:117]
	v_mov_b32_e32 v105, v29
	v_pk_mul_f32 v[106:107], v[106:107], s[16:17] op_sel_hi:[1,0]
	v_pk_add_f32 v[104:105], v[104:105], v[116:117]
	v_pk_fma_f32 v[116:117], v[26:27], s[14:15], v[106:107] op_sel_hi:[1,0,1] neg_lo:[0,0,1] neg_hi:[0,0,1]
	v_pk_fma_f32 v[26:27], v[26:27], s[14:15], v[106:107] op_sel_hi:[1,0,1]
	v_mov_b32_e32 v106, v116
	v_mov_b32_e32 v107, v27
	;; [unrolled: 1-line block ×3, first 2 shown]
	v_pk_add_f32 v[104:105], v[106:107], v[104:105]
	v_pk_mul_f32 v[106:107], v[108:109], s[28:29] op_sel_hi:[1,0]
	v_pk_add_f32 v[30:31], v[20:21], v[30:31]
	v_mov_b32_e32 v29, v121
	v_pk_fma_f32 v[108:109], v[24:25], s[2:3], v[106:107] op_sel_hi:[1,0,1] neg_lo:[0,0,1] neg_hi:[0,0,1]
	v_pk_fma_f32 v[24:25], v[24:25], s[2:3], v[106:107] op_sel_hi:[1,0,1]
	v_pk_add_f32 v[28:29], v[28:29], v[30:31]
	v_mov_b32_e32 v27, v117
	v_mov_b32_e32 v107, v25
	v_pk_add_f32 v[26:27], v[26:27], v[28:29]
	v_mov_b32_e32 v25, v109
	v_mov_b32_e32 v35, v45
	;; [unrolled: 1-line block ×4, first 2 shown]
	v_pk_add_f32 v[24:25], v[24:25], v[26:27]
	v_pk_add_f32 v[26:27], v[20:21], v[34:35]
	v_mov_b32_e32 v67, v69
	v_pk_add_f32 v[20:21], v[20:21], v[36:37]
	v_mov_b32_e32 v47, v49
	v_pk_add_f32 v[104:105], v[106:107], v[104:105]
	v_pk_mul_f32 v[106:107], v[110:111], s[34:35] op_sel_hi:[1,0]
	v_pk_add_f32 v[26:27], v[66:67], v[26:27]
	v_mov_b32_e32 v71, v99
	v_pk_add_f32 v[20:21], v[46:47], v[20:21]
	v_mov_b32_e32 v51, v53
	v_pk_fma_f32 v[110:111], v[32:33], s[18:19], v[106:107] op_sel_hi:[1,0,1] neg_lo:[0,0,1] neg_hi:[0,0,1]
	v_pk_fma_f32 v[32:33], v[32:33], s[18:19], v[106:107] op_sel_hi:[1,0,1]
	v_pk_add_f32 v[26:27], v[70:71], v[26:27]
	v_mov_b32_e32 v101, v103
	v_pk_add_f32 v[20:21], v[50:51], v[20:21]
	v_mov_b32_e32 v57, v59
	v_mov_b32_e32 v106, v110
	;; [unrolled: 1-line block ×4, first 2 shown]
	v_pk_add_f32 v[26:27], v[100:101], v[26:27]
	v_mov_b32_e32 v113, v115
	v_pk_add_f32 v[20:21], v[56:57], v[20:21]
	v_mov_b32_e32 v61, v63
	v_pk_add_f32 v[104:105], v[106:107], v[104:105]
	v_pk_add_f32 v[24:25], v[32:33], v[24:25]
	;; [unrolled: 1-line block ×4, first 2 shown]
	ds_write2_b64 v22, v[64:65], v[104:105] offset0:12 offset1:15
	ds_write2_b64 v22, v[24:25], v[26:27] offset0:18 offset1:21
	;; [unrolled: 1-line block ×3, first 2 shown]
	ds_write_b64 v22, v[96:97] offset:240
.LBB0_5:
	s_or_b64 exec, exec, s[30:31]
	s_movk_i32 s2, 0xf9
	v_mul_lo_u16_sdwa v20, v76, s2 dst_sel:DWORD dst_unused:UNUSED_PAD src0_sel:BYTE_0 src1_sel:DWORD
	v_lshrrev_b16_e32 v50, 13, v20
	v_mul_lo_u16_sdwa v21, v40, s2 dst_sel:DWORD dst_unused:UNUSED_PAD src0_sel:BYTE_0 src1_sel:DWORD
	v_mul_lo_u16_e32 v20, 33, v50
	v_lshrrev_b16_e32 v69, 13, v21
	v_sub_u16_e32 v20, v76, v20
	v_mul_lo_u16_e32 v21, 33, v69
	v_and_b32_e32 v68, 0xff, v20
	v_sub_u16_e32 v21, v40, v21
	v_lshlrev_b32_e32 v20, 4, v68
	v_and_b32_e32 v104, 0xff, v21
	s_mov_b32 s2, 0xf83f
	s_waitcnt lgkmcnt(0)
	s_barrier
	v_lshlrev_b32_e32 v21, 4, v104
	global_load_dwordx4 v[28:31], v20, s[10:11] offset:240
	global_load_dwordx4 v[24:27], v21, s[10:11] offset:240
	v_mul_u32_u24_sdwa v20, v42, s2 dst_sel:DWORD dst_unused:UNUSED_PAD src0_sel:WORD_0 src1_sel:DWORD
	v_lshrrev_b32_e32 v105, 21, v20
	v_mul_lo_u16_e32 v20, 33, v105
	v_sub_u16_e32 v106, v42, v20
	v_lshlrev_b16_e32 v22, 4, v106
	v_lshl_add_u64 v[20:21], s[10:11], 0, v[22:23]
	global_load_dwordx4 v[20:23], v[20:21], off offset:240
	v_add_u32_e32 v36, 0x400, v72
	v_add_u32_e32 v40, 0x1400, v72
	;; [unrolled: 1-line block ×3, first 2 shown]
	ds_read2_b64 v[32:35], v72 offset1:121
	ds_read_b64 v[48:49], v72 offset:7744
	ds_read2_b64 v[36:39], v36 offset0:114 offset1:235
	ds_read2_b64 v[40:43], v40 offset0:86 offset1:207
	;; [unrolled: 1-line block ×3, first 2 shown]
	v_mul_u32_u24_e32 v107, 0x63, v50
	s_mov_b32 s2, 0x3f5db3d7
	s_movk_i32 s3, 0x63
	v_add_lshl_u32 v167, v107, v68, 3
	s_waitcnt lgkmcnt(0)
	s_barrier
	s_waitcnt vmcnt(2)
	v_pk_mul_f32 v[50:51], v[38:39], v[28:29] op_sel:[0,1]
	v_mov_b32_e32 v52, v31
	v_pk_fma_f32 v[66:67], v[38:39], v[28:29], v[50:51] op_sel:[0,0,1] op_sel_hi:[1,1,0] neg_lo:[0,0,1] neg_hi:[0,0,1]
	v_pk_fma_f32 v[38:39], v[38:39], v[28:29], v[50:51] op_sel:[0,0,1] op_sel_hi:[1,0,0]
	v_pk_mul_f32 v[50:51], v[40:41], v[52:53] op_sel_hi:[1,0]
	s_waitcnt vmcnt(1)
	v_pk_mul_f32 v[56:57], v[44:45], v[24:25] op_sel_hi:[1,0]
	v_pk_mul_f32 v[58:59], v[42:43], v[26:27] op_sel_hi:[1,0]
	v_mov_b32_e32 v60, v27
	v_mov_b32_e32 v67, v39
	v_pk_fma_f32 v[38:39], v[40:41], v[30:31], v[50:51] op_sel:[0,0,1] op_sel_hi:[1,1,0] neg_lo:[0,0,1] neg_hi:[0,0,1]
	v_pk_fma_f32 v[40:41], v[40:41], v[30:31], v[50:51] op_sel:[0,0,1] op_sel_hi:[1,0,0]
	v_pk_fma_f32 v[52:53], v[44:45], v[24:25], v[56:57] op_sel:[0,0,1] op_sel_hi:[1,1,0] neg_lo:[1,0,0] neg_hi:[1,0,0]
	v_pk_fma_f32 v[44:45], v[44:45], v[24:25], v[56:57] op_sel:[0,1,1] op_sel_hi:[1,1,0]
	;; [unrolled: 2-line block ×3, first 2 shown]
	v_mov_b32_e32 v39, v41
	v_pk_add_f32 v[40:41], v[32:33], v[66:67]
	v_mov_b32_e32 v43, v57
	v_mov_b32_e32 v52, v57
	v_pk_add_f32 v[56:57], v[40:41], v[38:39]
	v_pk_add_f32 v[40:41], v[66:67], v[38:39]
	v_pk_add_f32 v[38:39], v[66:67], v[38:39] neg_lo:[0,1] neg_hi:[0,1]
	s_waitcnt vmcnt(0)
	v_pk_mul_f32 v[62:63], v[46:47], v[20:21] op_sel:[0,1]
	v_mov_b32_e32 v64, v23
	v_pk_fma_f32 v[32:33], v[40:41], 0.5, v[32:33] op_sel_hi:[1,0,1] neg_lo:[1,0,0] neg_hi:[1,0,0]
	v_pk_mul_f32 v[38:39], v[38:39], s[2:3] op_sel_hi:[1,0]
	v_pk_fma_f32 v[58:59], v[46:47], v[20:21], v[62:63] op_sel:[0,0,1] op_sel_hi:[1,1,0] neg_lo:[0,0,1] neg_hi:[0,0,1]
	v_pk_fma_f32 v[46:47], v[46:47], v[20:21], v[62:63] op_sel:[0,0,1] op_sel_hi:[1,0,0]
	v_pk_mul_f32 v[60:61], v[48:49], v[64:65] op_sel_hi:[1,0]
	v_mov_b32_e32 v45, v53
	v_mov_b32_e32 v50, v53
	;; [unrolled: 1-line block ×4, first 2 shown]
	v_pk_add_f32 v[64:65], v[32:33], v[38:39] op_sel:[0,1] op_sel_hi:[1,0] neg_lo:[0,1] neg_hi:[0,1]
	v_pk_add_f32 v[102:103], v[38:39], v[32:33] op_sel:[1,0] op_sel_hi:[0,1]
	v_mov_b32_e32 v59, v47
	v_pk_fma_f32 v[46:47], v[48:49], v[22:23], v[60:61] op_sel:[0,0,1] op_sel_hi:[1,1,0] neg_lo:[0,0,1] neg_hi:[0,0,1]
	v_pk_fma_f32 v[48:49], v[48:49], v[22:23], v[60:61] op_sel:[0,0,1] op_sel_hi:[1,0,0]
	v_pk_add_f32 v[60:61], v[50:51], v[52:53]
	v_mov_b32_e32 v32, v102
	v_mov_b32_e32 v33, v65
	v_pk_add_f32 v[42:43], v[44:45], v[42:43] neg_lo:[0,1] neg_hi:[0,1]
	v_pk_add_f32 v[44:45], v[34:35], v[50:51]
	v_pk_fma_f32 v[34:35], v[60:61], 0.5, v[34:35] op_sel_hi:[1,0,1] neg_lo:[1,0,0] neg_hi:[1,0,0]
	ds_write2_b64 v167, v[56:57], v[32:33] offset1:33
	v_mov_b32_e32 v32, v64
	v_mov_b32_e32 v33, v103
	;; [unrolled: 1-line block ×3, first 2 shown]
	v_pk_add_f32 v[48:49], v[36:37], v[58:59]
	v_pk_fma_f32 v[70:71], v[42:43], s[2:3], v[34:35] op_sel_hi:[1,0,1] neg_lo:[1,0,0] neg_hi:[1,0,0]
	v_pk_fma_f32 v[100:101], v[42:43], s[2:3], v[34:35] op_sel_hi:[1,0,1]
	ds_write_b64 v167, v[32:33] offset:528
	v_mul_u32_u24_e32 v32, 0x63, v69
	v_pk_add_f32 v[66:67], v[44:45], v[52:53]
	v_pk_add_f32 v[60:61], v[48:49], v[46:47]
	;; [unrolled: 1-line block ×3, first 2 shown]
	v_pk_add_f32 v[46:47], v[58:59], v[46:47] neg_lo:[0,1] neg_hi:[0,1]
	v_add_lshl_u32 v168, v32, v104, 3
	v_mov_b32_e32 v32, v100
	v_mov_b32_e32 v33, v71
	v_pk_fma_f32 v[34:35], v[44:45], 0.5, v[36:37] op_sel_hi:[1,0,1] neg_lo:[1,0,0] neg_hi:[1,0,0]
	v_pk_mul_f32 v[36:37], v[46:47], s[2:3] op_sel_hi:[1,0]
	ds_write2_b64 v168, v[66:67], v[32:33] offset1:33
	v_mov_b32_e32 v32, v70
	v_mov_b32_e32 v33, v101
	v_pk_add_f32 v[52:53], v[34:35], v[36:37] op_sel:[0,1] op_sel_hi:[1,0] neg_lo:[0,1] neg_hi:[0,1]
	v_pk_add_f32 v[98:99], v[36:37], v[34:35] op_sel:[1,0] op_sel_hi:[0,1]
	ds_write_b64 v168, v[32:33] offset:528
	v_mad_legacy_u16 v32, v105, s3, v106
	v_lshlrev_b32_e32 v169, 3, v32
	v_mov_b32_e32 v32, v98
	v_mov_b32_e32 v33, v53
	ds_write2_b64 v169, v[60:61], v[32:33] offset1:33
	v_mov_b32_e32 v32, v52
	v_mov_b32_e32 v33, v99
	ds_write_b64 v169, v[32:33] offset:528
	s_waitcnt lgkmcnt(0)
	s_barrier
	s_and_saveexec_b64 s[2:3], s[0:1]
	s_xor_b64 s[2:3], exec, s[2:3]
	s_andn2_saveexec_b64 s[2:3], s[2:3]
	s_cbranch_execz .LBB0_7
; %bb.6:
	v_add_u32_e32 v34, 0x1000, v72
	ds_read2_b64 v[56:59], v72 offset1:99
	ds_read2_b64 v[60:63], v34 offset0:82 offset1:181
	v_add_u32_e32 v34, 0x1800, v72
	v_add_u32_e32 v32, 0x400, v72
	;; [unrolled: 1-line block ×3, first 2 shown]
	ds_read2_b64 v[52:55], v34 offset0:24 offset1:123
	ds_read2_b64 v[68:71], v33 offset0:140 offset1:239
	;; [unrolled: 1-line block ×3, first 2 shown]
	ds_read_b64 v[96:97], v72 offset:7920
	s_waitcnt lgkmcnt(4)
	v_mov_b32_e32 v98, v62
	s_waitcnt lgkmcnt(3)
	v_mov_b32_e32 v99, v53
	;; [unrolled: 2-line block ×3, first 2 shown]
	v_mov_b32_e32 v101, v71
	v_mov_b32_e32 v102, v58
	s_waitcnt lgkmcnt(1)
	v_mov_b32_e32 v103, v65
	v_mov_b32_e32 v53, v63
	v_mov_b32_e32 v71, v69
	v_mov_b32_e32 v65, v59
.LBB0_7:
	s_or_b64 exec, exec, s[2:3]
	v_add_u32_e32 v32, 0xffffff9d, v76
	v_cndmask_b32_e32 v32, v32, v76, vcc
	v_mul_hi_i32_i24_e32 v33, 0x50, v32
	v_mul_i32_i24_e32 v32, 0x50, v32
	v_lshl_add_u64 v[58:59], s[10:11], 0, v[32:33]
	global_load_dwordx4 v[32:35], v[58:59], off offset:768
	global_load_dwordx4 v[44:47], v[58:59], off offset:784
	;; [unrolled: 1-line block ×5, first 2 shown]
	s_mov_b32 s26, 0xbf68dda4
	s_mov_b32 s2, 0x3ed4b147
	;; [unrolled: 1-line block ×13, first 2 shown]
	s_waitcnt vmcnt(4)
	v_pk_mul_f32 v[58:59], v[64:65], v[32:33] op_sel:[1,0]
	v_pk_mul_f32 v[62:63], v[102:103], v[34:35] op_sel:[1,0]
	s_waitcnt vmcnt(3)
	v_pk_mul_f32 v[68:69], v[66:67], v[44:45] op_sel:[1,0]
	v_pk_mul_f32 v[108:109], v[70:71], v[46:47] op_sel:[1,0]
	;; [unrolled: 3-line block ×3, first 2 shown]
	s_waitcnt vmcnt(0) lgkmcnt(0)
	v_pk_mul_f32 v[120:121], v[96:97], v[50:51] op_sel:[1,0]
	v_pk_mul_f32 v[118:119], v[54:55], v[48:49] op_sel:[1,0]
	v_pk_fma_f32 v[104:105], v[102:103], v[32:33], v[58:59] op_sel:[0,0,1] op_sel_hi:[1,1,0] neg_lo:[0,0,1] neg_hi:[0,0,1]
	v_pk_fma_f32 v[58:59], v[102:103], v[32:33], v[58:59] op_sel:[0,0,1] op_sel_hi:[0,1,0]
	v_pk_fma_f32 v[102:103], v[64:65], v[34:35], v[62:63] op_sel:[0,0,1] op_sel_hi:[1,1,0] neg_lo:[0,0,1] neg_hi:[0,0,1]
	v_pk_fma_f32 v[62:63], v[64:65], v[34:35], v[62:63] op_sel:[0,0,1] op_sel_hi:[0,1,0]
	;; [unrolled: 2-line block ×7, first 2 shown]
	v_pk_mul_f32 v[114:115], v[52:53], v[40:41] op_sel:[1,0]
	v_pk_mul_f32 v[116:117], v[98:99], v[42:43] op_sel:[1,0]
	v_pk_fma_f32 v[110:111], v[54:55], v[48:49], v[118:119] op_sel:[0,0,1] op_sel_hi:[1,1,0] neg_lo:[0,0,1] neg_hi:[0,0,1]
	v_pk_fma_f32 v[54:55], v[54:55], v[48:49], v[118:119] op_sel:[0,0,1] op_sel_hi:[0,1,0]
	v_mov_b32_e32 v105, v59
	v_mov_b32_e32 v113, v97
	v_pk_fma_f32 v[108:109], v[98:99], v[40:41], v[114:115] op_sel:[0,0,1] op_sel_hi:[1,1,0] neg_lo:[0,0,1] neg_hi:[0,0,1]
	v_pk_fma_f32 v[114:115], v[98:99], v[40:41], v[114:115] op_sel:[0,0,1] op_sel_hi:[0,1,0]
	v_pk_fma_f32 v[98:99], v[52:53], v[42:43], v[116:117] op_sel:[0,0,1] op_sel_hi:[1,1,0] neg_lo:[0,0,1] neg_hi:[0,0,1]
	v_pk_fma_f32 v[52:53], v[52:53], v[42:43], v[116:117] op_sel:[0,0,1] op_sel_hi:[0,1,0]
	v_mov_b32_e32 v103, v63
	v_mov_b32_e32 v111, v55
	v_pk_add_f32 v[128:129], v[104:105], v[112:113] neg_lo:[0,1] neg_hi:[0,1]
	v_mov_b32_e32 v107, v65
	v_mov_b32_e32 v99, v53
	v_pk_add_f32 v[64:65], v[104:105], v[112:113]
	v_pk_add_f32 v[130:131], v[102:103], v[110:111] neg_lo:[0,1] neg_hi:[0,1]
	v_pk_mul_f32 v[54:55], v[128:129], s[26:27] op_sel:[1,0] op_sel_hi:[0,0]
	v_mov_b32_e32 v67, v69
	v_mov_b32_e32 v109, v115
	v_pk_add_f32 v[62:63], v[102:103], v[110:111]
	v_pk_add_f32 v[132:133], v[106:107], v[98:99] neg_lo:[0,1] neg_hi:[0,1]
	v_pk_mul_f32 v[68:69], v[130:131], s[14:15] op_sel:[1,0] op_sel_hi:[0,0]
	v_pk_fma_f32 v[124:125], v[64:65], s[2:3], v[54:55] op_sel_hi:[1,0,1]
	v_pk_fma_f32 v[126:127], v[64:65], s[2:3], v[54:55] op_sel_hi:[1,0,1] neg_lo:[0,0,1] neg_hi:[0,0,1]
	v_mov_b32_e32 v101, v123
	v_mov_b32_e32 v71, v61
	v_pk_add_f32 v[60:61], v[106:107], v[98:99]
	v_pk_add_f32 v[134:135], v[66:67], v[108:109] neg_lo:[0,1] neg_hi:[0,1]
	v_pk_mul_f32 v[96:97], v[132:133], s[28:29] op_sel:[1,0] op_sel_hi:[0,0]
	v_pk_fma_f32 v[120:121], v[62:63], s[10:11], v[68:69] op_sel_hi:[1,0,1]
	v_pk_fma_f32 v[122:123], v[62:63], s[10:11], v[68:69] op_sel_hi:[1,0,1] neg_lo:[0,0,1] neg_hi:[0,0,1]
	v_mov_b32_e32 v54, v124
	v_mov_b32_e32 v55, v127
	v_pk_add_f32 v[58:59], v[66:67], v[108:109]
	v_pk_mul_f32 v[114:115], v[134:135], s[22:23] op_sel:[1,0] op_sel_hi:[0,0]
	v_pk_fma_f32 v[116:117], v[60:61], s[18:19], v[96:97] op_sel_hi:[1,0,1]
	v_pk_fma_f32 v[118:119], v[60:61], s[18:19], v[96:97] op_sel_hi:[1,0,1] neg_lo:[0,0,1] neg_hi:[0,0,1]
	v_mov_b32_e32 v68, v120
	v_mov_b32_e32 v69, v123
	v_pk_add_f32 v[54:55], v[56:57], v[54:55]
	;; [unrolled: 6-line block ×3, first 2 shown]
	v_mov_b32_e32 v142, v96
	v_mov_b32_e32 v143, v115
	v_pk_add_f32 v[54:55], v[138:139], v[54:55]
	v_pk_fma_f32 v[138:139], v[64:65], s[20:21], v[140:141] op_sel_hi:[1,0,1]
	v_pk_fma_f32 v[140:141], v[64:65], s[20:21], v[140:141] op_sel_hi:[1,0,1] neg_lo:[0,0,1] neg_hi:[0,0,1]
	v_pk_mul_f32 v[144:145], v[130:131], s[26:27] op_sel:[1,0] op_sel_hi:[0,0]
	v_pk_add_f32 v[54:55], v[142:143], v[54:55]
	v_mov_b32_e32 v68, v138
	v_mov_b32_e32 v69, v141
	v_pk_fma_f32 v[142:143], v[62:63], s[2:3], v[144:145] op_sel_hi:[1,0,1]
	v_pk_fma_f32 v[144:145], v[62:63], s[2:3], v[144:145] op_sel_hi:[1,0,1] neg_lo:[0,0,1] neg_hi:[0,0,1]
	v_pk_add_f32 v[68:69], v[56:57], v[68:69]
	v_mov_b32_e32 v146, v142
	v_mov_b32_e32 v147, v145
	v_pk_mul_f32 v[148:149], v[132:133], s[30:31] op_sel:[1,0] op_sel_hi:[0,0]
	v_pk_add_f32 v[68:69], v[146:147], v[68:69]
	v_pk_fma_f32 v[146:147], v[60:61], s[16:17], v[148:149] op_sel_hi:[1,0,1]
	v_pk_fma_f32 v[152:153], v[60:61], s[16:17], v[148:149] op_sel_hi:[1,0,1] neg_lo:[0,0,1] neg_hi:[0,0,1]
	v_mov_b32_e32 v148, v146
	v_mov_b32_e32 v149, v153
	v_pk_add_f32 v[68:69], v[148:149], v[68:69]
	v_pk_mul_f32 v[148:149], v[134:135], s[14:15] op_sel:[1,0] op_sel_hi:[0,0]
	v_pk_fma_f32 v[154:155], v[58:59], s[10:11], v[148:149] op_sel_hi:[1,0,1]
	v_pk_fma_f32 v[156:157], v[58:59], s[10:11], v[148:149] op_sel_hi:[1,0,1] neg_lo:[0,0,1] neg_hi:[0,0,1]
	v_pk_add_f32 v[136:137], v[100:101], v[70:71] neg_lo:[0,1] neg_hi:[0,1]
	v_mov_b32_e32 v148, v154
	v_mov_b32_e32 v149, v157
	v_pk_add_f32 v[52:53], v[100:101], v[70:71]
	v_pk_add_f32 v[68:69], v[148:149], v[68:69]
	v_pk_mul_f32 v[148:149], v[136:137], s[34:35] op_sel:[1,0] op_sel_hi:[0,0]
	v_pk_fma_f32 v[158:159], v[52:53], s[18:19], v[148:149] op_sel_hi:[1,0,1]
	v_pk_fma_f32 v[160:161], v[52:53], s[18:19], v[148:149] op_sel_hi:[1,0,1] neg_lo:[0,0,1] neg_hi:[0,0,1]
	v_mov_b32_e32 v148, v158
	v_mov_b32_e32 v149, v161
	v_pk_mul_f32 v[150:151], v[136:137], s[36:37] op_sel:[1,0] op_sel_hi:[0,0]
	v_pk_add_f32 v[68:69], v[148:149], v[68:69]
	v_pk_fma_f32 v[148:149], v[52:53], s[20:21], v[150:151] op_sel_hi:[1,0,1]
	v_pk_fma_f32 v[150:151], v[52:53], s[20:21], v[150:151] op_sel_hi:[1,0,1] neg_lo:[0,0,1] neg_hi:[0,0,1]
	v_mov_b32_e32 v164, v148
	v_mov_b32_e32 v165, v151
	v_pk_add_f32 v[54:55], v[164:165], v[54:55]
	s_and_saveexec_b64 s[26:27], vcc
	s_cbranch_execz .LBB0_9
; %bb.8:
	v_pk_add_f32 v[104:105], v[56:57], v[104:105]
	v_mov_b32_e32 v141, v139
	v_pk_add_f32 v[102:103], v[104:105], v[102:103]
	v_mov_b32_e32 v145, v143
	;; [unrolled: 2-line block ×5, first 2 shown]
	v_pk_add_f32 v[66:67], v[66:67], v[70:71]
	v_pk_add_f32 v[70:71], v[56:57], v[140:141]
	;; [unrolled: 1-line block ×8, first 2 shown]
	v_mov_b32_e32 v164, v129
	v_mov_b32_e32 v165, v128
	v_pk_add_f32 v[66:67], v[66:67], v[112:113]
	v_pk_add_f32 v[70:71], v[160:161], v[70:71]
	v_mov_b32_e32 v128, v131
	v_mov_b32_e32 v129, v130
	ds_write2_b64 v72, v[66:67], v[70:71] offset1:99
	v_pk_mul_f32 v[70:71], v[164:165], s[30:31] op_sel_hi:[1,0]
	v_mov_b32_e32 v115, v97
	v_pk_fma_f32 v[96:97], v[64:65], s[16:17], v[70:71] op_sel_hi:[1,0,1] neg_lo:[0,0,1] neg_hi:[0,0,1]
	v_pk_fma_f32 v[70:71], v[64:65], s[16:17], v[70:71] op_sel_hi:[1,0,1]
	v_pk_mul_f32 v[100:101], v[128:129], s[28:29] op_sel_hi:[1,0]
	v_mov_b32_e32 v98, v96
	v_mov_b32_e32 v99, v71
	v_pk_fma_f32 v[102:103], v[62:63], s[18:19], v[100:101] op_sel_hi:[1,0,1] neg_lo:[0,0,1] neg_hi:[0,0,1]
	v_pk_fma_f32 v[100:101], v[62:63], s[18:19], v[100:101] op_sel_hi:[1,0,1]
	v_mov_b32_e32 v130, v133
	v_mov_b32_e32 v131, v132
	v_pk_add_f32 v[98:99], v[56:57], v[98:99]
	v_mov_b32_e32 v104, v102
	v_mov_b32_e32 v105, v101
	s_mov_b32 s28, 0x3f68dda4
	v_pk_add_f32 v[98:99], v[104:105], v[98:99]
	v_pk_mul_f32 v[104:105], v[130:131], s[28:29] op_sel_hi:[1,0]
	v_mov_b32_e32 v132, v135
	v_pk_fma_f32 v[106:107], v[60:61], s[2:3], v[104:105] op_sel_hi:[1,0,1] neg_lo:[0,0,1] neg_hi:[0,0,1]
	v_pk_fma_f32 v[104:105], v[60:61], s[2:3], v[104:105] op_sel_hi:[1,0,1]
	v_mov_b32_e32 v133, v134
	v_mov_b32_e32 v108, v106
	;; [unrolled: 1-line block ×4, first 2 shown]
	v_pk_add_f32 v[98:99], v[108:109], v[98:99]
	v_pk_mul_f32 v[108:109], v[132:133], s[24:25] op_sel_hi:[1,0]
	v_pk_add_f32 v[66:67], v[56:57], v[126:127]
	v_mov_b32_e32 v123, v121
	v_pk_fma_f32 v[110:111], v[58:59], s[20:21], v[108:109] op_sel_hi:[1,0,1] neg_lo:[0,0,1] neg_hi:[0,0,1]
	v_pk_fma_f32 v[108:109], v[58:59], s[20:21], v[108:109] op_sel_hi:[1,0,1]
	v_mov_b32_e32 v134, v137
	v_mov_b32_e32 v135, v136
	v_pk_add_f32 v[66:67], v[122:123], v[66:67]
	v_mov_b32_e32 v119, v117
	v_mov_b32_e32 v112, v110
	;; [unrolled: 1-line block ×3, first 2 shown]
	v_pk_add_f32 v[66:67], v[118:119], v[66:67]
	v_pk_add_f32 v[98:99], v[112:113], v[98:99]
	v_pk_mul_f32 v[112:113], v[134:135], s[14:15] op_sel_hi:[1,0]
	v_pk_add_f32 v[66:67], v[114:115], v[66:67]
	v_pk_fma_f32 v[114:115], v[52:53], s[10:11], v[112:113] op_sel_hi:[1,0,1] neg_lo:[0,0,1] neg_hi:[0,0,1]
	v_pk_fma_f32 v[112:113], v[52:53], s[10:11], v[112:113] op_sel_hi:[1,0,1]
	v_mov_b32_e32 v151, v149
	v_mov_b32_e32 v116, v114
	;; [unrolled: 1-line block ×3, first 2 shown]
	v_pk_add_f32 v[66:67], v[150:151], v[66:67]
	v_pk_add_f32 v[98:99], v[116:117], v[98:99]
	v_add_u32_e32 v71, 0x400, v72
	ds_write2_b64 v71, v[66:67], v[98:99] offset0:70 offset1:169
	v_pk_mul_f32 v[66:67], v[164:165], s[14:15] op_sel_hi:[1,0]
	v_pk_mul_f32 v[118:119], v[128:129], s[22:23] op_sel_hi:[1,0]
	v_pk_fma_f32 v[98:99], v[64:65], s[10:11], v[66:67] op_sel_hi:[1,0,1] neg_lo:[0,0,1] neg_hi:[0,0,1]
	v_pk_fma_f32 v[66:67], v[64:65], s[10:11], v[66:67] op_sel_hi:[1,0,1]
	v_mov_b32_e32 v116, v98
	v_mov_b32_e32 v117, v67
	v_pk_fma_f32 v[120:121], v[62:63], s[16:17], v[118:119] op_sel_hi:[1,0,1] neg_lo:[0,0,1] neg_hi:[0,0,1]
	v_pk_fma_f32 v[118:119], v[62:63], s[16:17], v[118:119] op_sel_hi:[1,0,1]
	v_pk_add_f32 v[116:117], v[56:57], v[116:117]
	v_mov_b32_e32 v122, v120
	v_mov_b32_e32 v123, v119
	v_pk_add_f32 v[116:117], v[122:123], v[116:117]
	v_pk_mul_f32 v[122:123], v[130:131], s[24:25] op_sel_hi:[1,0]
	v_pk_mul_f32 v[128:129], v[128:129], s[36:37] op_sel_hi:[1,0]
	v_pk_fma_f32 v[124:125], v[60:61], s[20:21], v[122:123] op_sel_hi:[1,0,1] neg_lo:[0,0,1] neg_hi:[0,0,1]
	v_pk_fma_f32 v[122:123], v[60:61], s[20:21], v[122:123] op_sel_hi:[1,0,1]
	v_mov_b32_e32 v126, v124
	v_mov_b32_e32 v127, v123
	v_pk_add_f32 v[116:117], v[126:127], v[116:117]
	v_pk_mul_f32 v[126:127], v[132:133], s[34:35] op_sel_hi:[1,0]
	v_pk_fma_f32 v[146:147], v[62:63], s[20:21], v[128:129] op_sel_hi:[1,0,1] neg_lo:[0,0,1] neg_hi:[0,0,1]
	v_pk_fma_f32 v[136:137], v[58:59], s[18:19], v[126:127] op_sel_hi:[1,0,1] neg_lo:[0,0,1] neg_hi:[0,0,1]
	v_pk_fma_f32 v[126:127], v[58:59], s[18:19], v[126:127] op_sel_hi:[1,0,1]
	v_mov_b32_e32 v138, v136
	v_mov_b32_e32 v139, v127
	v_pk_add_f32 v[116:117], v[138:139], v[116:117]
	v_pk_mul_f32 v[138:139], v[134:135], s[28:29] op_sel_hi:[1,0]
	v_pk_fma_f32 v[62:63], v[62:63], s[20:21], v[128:129] op_sel_hi:[1,0,1]
	v_pk_fma_f32 v[140:141], v[52:53], s[2:3], v[138:139] op_sel_hi:[1,0,1] neg_lo:[0,0,1] neg_hi:[0,0,1]
	v_pk_fma_f32 v[138:139], v[52:53], s[2:3], v[138:139] op_sel_hi:[1,0,1]
	v_mov_b32_e32 v142, v140
	v_mov_b32_e32 v143, v139
	v_pk_add_f32 v[116:117], v[142:143], v[116:117]
	v_pk_mul_f32 v[142:143], v[164:165], s[34:35] op_sel_hi:[1,0]
	v_mov_b32_e32 v128, v146
	v_pk_fma_f32 v[144:145], v[64:65], s[18:19], v[142:143] op_sel_hi:[1,0,1] neg_lo:[0,0,1] neg_hi:[0,0,1]
	v_pk_fma_f32 v[64:65], v[64:65], s[18:19], v[142:143] op_sel_hi:[1,0,1]
	v_mov_b32_e32 v142, v144
	v_mov_b32_e32 v143, v65
	v_pk_add_f32 v[142:143], v[56:57], v[142:143]
	v_mov_b32_e32 v129, v63
	v_pk_mul_f32 v[130:131], v[130:131], s[14:15] op_sel_hi:[1,0]
	v_pk_add_f32 v[128:129], v[128:129], v[142:143]
	v_pk_fma_f32 v[142:143], v[60:61], s[10:11], v[130:131] op_sel_hi:[1,0,1] neg_lo:[0,0,1] neg_hi:[0,0,1]
	v_pk_fma_f32 v[60:61], v[60:61], s[10:11], v[130:131] op_sel_hi:[1,0,1]
	v_mov_b32_e32 v130, v142
	v_mov_b32_e32 v131, v61
	v_pk_add_f32 v[128:129], v[130:131], v[128:129]
	v_pk_mul_f32 v[130:131], v[132:133], s[28:29] op_sel_hi:[1,0]
	v_mov_b32_e32 v65, v145
	v_pk_fma_f32 v[132:133], v[58:59], s[2:3], v[130:131] op_sel_hi:[1,0,1] neg_lo:[0,0,1] neg_hi:[0,0,1]
	v_pk_fma_f32 v[58:59], v[58:59], s[2:3], v[130:131] op_sel_hi:[1,0,1]
	v_mov_b32_e32 v130, v132
	v_mov_b32_e32 v131, v59
	v_pk_add_f32 v[128:129], v[130:131], v[128:129]
	v_pk_mul_f32 v[130:131], v[134:135], s[30:31] op_sel_hi:[1,0]
	v_pk_add_f32 v[64:65], v[56:57], v[64:65]
	v_pk_fma_f32 v[134:135], v[52:53], s[16:17], v[130:131] op_sel_hi:[1,0,1] neg_lo:[0,0,1] neg_hi:[0,0,1]
	v_pk_fma_f32 v[52:53], v[52:53], s[16:17], v[130:131] op_sel_hi:[1,0,1]
	v_mov_b32_e32 v63, v147
	v_mov_b32_e32 v130, v134
	v_mov_b32_e32 v131, v53
	v_pk_add_f32 v[62:63], v[62:63], v[64:65]
	v_mov_b32_e32 v61, v143
	v_pk_add_f32 v[128:129], v[130:131], v[128:129]
	v_add_u32_e32 v53, 0x800, v72
	v_pk_add_f32 v[60:61], v[60:61], v[62:63]
	v_mov_b32_e32 v59, v133
	ds_write2_b64 v53, v[116:117], v[128:129] offset0:140 offset1:239
	v_pk_add_f32 v[58:59], v[58:59], v[60:61]
	v_mov_b32_e32 v53, v135
	v_mov_b32_e32 v67, v99
	v_pk_add_f32 v[52:53], v[52:53], v[58:59]
	v_pk_add_f32 v[58:59], v[56:57], v[66:67]
	v_mov_b32_e32 v119, v121
	v_pk_add_f32 v[58:59], v[118:119], v[58:59]
	v_mov_b32_e32 v123, v125
	;; [unrolled: 2-line block ×4, first 2 shown]
	v_pk_add_f32 v[58:59], v[138:139], v[58:59]
	v_add_u32_e32 v60, 0x1000, v72
	v_mov_b32_e32 v71, v97
	ds_write2_b64 v60, v[52:53], v[58:59] offset0:82 offset1:181
	v_pk_add_f32 v[52:53], v[56:57], v[70:71]
	v_mov_b32_e32 v101, v103
	v_pk_add_f32 v[52:53], v[100:101], v[52:53]
	v_mov_b32_e32 v105, v107
	;; [unrolled: 2-line block ×4, first 2 shown]
	v_pk_add_f32 v[52:53], v[112:113], v[52:53]
	v_add_u32_e32 v56, 0x1800, v72
	ds_write2_b64 v56, v[52:53], v[54:55] offset0:24 offset1:123
	ds_write_b64 v72, v[68:69] offset:7920
.LBB0_9:
	s_or_b64 exec, exec, s[26:27]
	v_lshlrev_b32_e32 v52, 3, v76
	v_mov_b32_e32 v53, 0
	v_lshl_add_u64 v[52:53], s[8:9], 0, v[52:53]
	s_mov_b64 s[2:3], 0x2208
	v_lshl_add_u64 v[56:57], v[52:53], 0, s[2:3]
	s_movk_i32 s2, 0x2000
	v_add_co_u32_e64 v58, s[2:3], s2, v52
	s_waitcnt lgkmcnt(0)
	s_nop 0
	v_addc_co_u32_e64 v59, s[2:3], 0, v53, s[2:3]
	s_movk_i32 s2, 0x4000
	s_barrier
	global_load_dwordx2 v[60:61], v[58:59], off offset:520
	global_load_dwordx2 v[62:63], v[56:57], off offset:968
	v_add_co_u32_e64 v58, s[2:3], s2, v52
	v_add_u32_e32 v110, 0x400, v72
	s_nop 0
	v_addc_co_u32_e64 v59, s[2:3], 0, v53, s[2:3]
	global_load_dwordx2 v[64:65], v[58:59], off offset:72
	global_load_dwordx2 v[70:71], v[56:57], off offset:2904
	s_movk_i32 s2, 0x3000
	v_add_co_u32_e64 v52, s[2:3], s2, v52
	v_add_u32_e32 v111, 0x1400, v72
	s_nop 0
	v_addc_co_u32_e64 v53, s[2:3], 0, v53, s[2:3]
	global_load_dwordx2 v[96:97], v[52:53], off offset:2232
	global_load_dwordx2 v[98:99], v[56:57], off offset:3872
	;; [unrolled: 1-line block ×5, first 2 shown]
	ds_read2_b64 v[56:59], v72 offset1:121
	ds_read_b64 v[52:53], v72 offset:7744
	v_add_u32_e32 v112, 0xc00, v72
	v_add_u32_e32 v113, 0x800, v72
	;; [unrolled: 1-line block ×4, first 2 shown]
	s_mov_b32 s2, 0x3f5db3d7
	s_waitcnt vmcnt(8) lgkmcnt(1)
	v_mul_f32_e32 v66, v57, v61
	v_mul_f32_e32 v67, v56, v61
	v_fma_f32 v66, v56, v60, -v66
	v_fmac_f32_e32 v67, v57, v60
	s_waitcnt vmcnt(7)
	v_mul_f32_e32 v61, v59, v63
	v_mul_f32_e32 v107, v58, v63
	s_waitcnt vmcnt(6) lgkmcnt(0)
	v_mul_f32_e32 v63, v53, v65
	v_mul_f32_e32 v109, v52, v65
	ds_write_b64 v72, v[66:67]
	v_fma_f32 v106, v58, v62, -v61
	v_fmac_f32_e32 v107, v59, v62
	ds_read2_b64 v[56:59], v110 offset0:114 offset1:235
	v_fma_f32 v108, v52, v64, -v63
	ds_read2_b64 v[60:63], v111 offset0:86 offset1:207
	v_fmac_f32_e32 v109, v53, v64
	ds_read2_b64 v[64:67], v112 offset0:100 offset1:221
	s_waitcnt vmcnt(5) lgkmcnt(2)
	v_mul_f32_e32 v52, v59, v71
	v_mul_f32_e32 v53, v58, v71
	s_waitcnt vmcnt(4) lgkmcnt(1)
	v_mul_f32_e32 v116, v61, v97
	v_mul_f32_e32 v71, v60, v97
	;; [unrolled: 3-line block ×3, first 2 shown]
	s_waitcnt vmcnt(2)
	v_mul_f32_e32 v118, v63, v101
	v_mul_f32_e32 v99, v62, v101
	s_waitcnt vmcnt(1)
	v_mul_f32_e32 v119, v57, v103
	v_mul_f32_e32 v101, v56, v103
	;; [unrolled: 3-line block ×3, first 2 shown]
	v_fma_f32 v52, v58, v70, -v52
	v_fmac_f32_e32 v53, v59, v70
	v_fma_f32 v70, v60, v96, -v116
	v_fmac_f32_e32 v71, v61, v96
	;; [unrolled: 2-line block ×6, first 2 shown]
	ds_write2_b64 v113, v[52:53], v[96:97] offset0:107 offset1:228
	ds_write2_b64 v72, v[106:107], v[100:101] offset0:121 offset1:242
	;; [unrolled: 1-line block ×4, first 2 shown]
	s_waitcnt lgkmcnt(0)
	s_barrier
	ds_read2_b64 v[58:61], v72 offset1:121
	ds_read2_b64 v[62:65], v110 offset0:114 offset1:235
	ds_read2_b64 v[98:101], v111 offset0:86 offset1:207
	;; [unrolled: 1-line block ×3, first 2 shown]
	s_waitcnt lgkmcnt(2)
	v_pk_add_f32 v[52:53], v[58:59], v[64:65]
	s_waitcnt lgkmcnt(1)
	v_pk_add_f32 v[66:67], v[64:65], v[98:99]
	v_pk_add_f32 v[56:57], v[52:53], v[98:99]
	v_pk_fma_f32 v[52:53], v[66:67], 0.5, v[58:59] op_sel_hi:[1,0,1] neg_lo:[1,0,0] neg_hi:[1,0,0]
	ds_read_b64 v[66:67], v72 offset:7744
	v_pk_add_f32 v[64:65], v[64:65], v[98:99] neg_lo:[0,1] neg_hi:[0,1]
	s_waitcnt lgkmcnt(1)
	v_pk_add_f32 v[70:71], v[104:105], v[100:101]
	v_pk_add_f32 v[58:59], v[104:105], v[100:101] neg_lo:[0,1] neg_hi:[0,1]
	v_pk_fma_f32 v[98:99], v[64:65], s[2:3], v[52:53] op_sel:[0,0,1] op_sel_hi:[1,0,0]
	v_pk_fma_f32 v[96:97], v[64:65], s[2:3], v[52:53] op_sel:[0,0,1] op_sel_hi:[1,0,0] neg_lo:[1,0,0] neg_hi:[1,0,0]
	v_pk_fma_f32 v[52:53], v[70:71], 0.5, v[60:61] op_sel_hi:[1,0,1] neg_lo:[1,0,0] neg_hi:[1,0,0]
	v_pk_mul_f32 v[58:59], v[58:59], s[2:3] op_sel_hi:[1,0]
	v_pk_add_f32 v[60:61], v[60:61], v[104:105]
	v_pk_add_f32 v[104:105], v[52:53], v[58:59] op_sel:[0,1] op_sel_hi:[1,0]
	v_pk_add_f32 v[64:65], v[52:53], v[58:59] op_sel:[0,1] op_sel_hi:[1,0] neg_lo:[0,1] neg_hi:[0,1]
	v_pk_add_f32 v[52:53], v[62:63], v[106:107]
	v_pk_add_f32 v[100:101], v[60:61], v[100:101]
	s_waitcnt lgkmcnt(0)
	v_pk_add_f32 v[60:61], v[52:53], v[66:67]
	v_pk_add_f32 v[52:53], v[106:107], v[66:67]
	v_pk_add_f32 v[58:59], v[106:107], v[66:67] neg_lo:[0,1] neg_hi:[0,1]
	v_pk_fma_f32 v[52:53], v[52:53], 0.5, v[62:63] op_sel_hi:[1,0,1] neg_lo:[1,0,0] neg_hi:[1,0,0]
	s_nop 0
	v_pk_fma_f32 v[110:111], v[58:59], s[2:3], v[52:53] op_sel:[0,0,1] op_sel_hi:[1,0,0]
	v_pk_fma_f32 v[52:53], v[58:59], s[2:3], v[52:53] op_sel:[0,0,1] op_sel_hi:[1,0,0] neg_lo:[1,0,0] neg_hi:[1,0,0]
	v_mov_b32_e32 v58, v97
	v_mov_b32_e32 v59, v98
	s_barrier
	ds_write2_b64 v77, v[56:57], v[58:59] offset1:1
	v_mov_b32_e32 v58, v99
	v_mov_b32_e32 v59, v96
	ds_write_b64 v77, v[58:59] offset:16
	v_mov_b32_e32 v58, v64
	v_mov_b32_e32 v59, v105
	ds_write2_b64 v85, v[100:101], v[58:59] offset1:1
	v_mov_b32_e32 v58, v104
	v_mov_b32_e32 v59, v65
	ds_write_b64 v85, v[58:59] offset:16
	v_mov_b32_e32 v58, v53
	v_mov_b32_e32 v59, v110
	ds_write2_b64 v162, v[60:61], v[58:59] offset1:1
	v_mov_b32_e32 v58, v111
	v_mov_b32_e32 v59, v52
	ds_write_b64 v162, v[58:59] offset:16
	s_waitcnt lgkmcnt(0)
	s_barrier
	s_and_saveexec_b64 s[2:3], s[0:1]
	s_xor_b64 s[2:3], exec, s[2:3]
	s_andn2_saveexec_b64 s[2:3], s[2:3]
	s_cbranch_execz .LBB0_11
; %bb.10:
	v_add_u32_e32 v52, 0x1000, v72
	ds_read2_b64 v[56:59], v72 offset1:99
	v_add_u32_e32 v68, 0x400, v72
	v_add_u32_e32 v64, 0x800, v72
	ds_read2_b64 v[60:63], v52 offset0:82 offset1:181
	v_add_u32_e32 v52, 0x1800, v72
	ds_read2_b64 v[52:55], v52 offset0:24 offset1:123
	ds_read2_b64 v[64:67], v64 offset0:140 offset1:239
	;; [unrolled: 1-line block ×3, first 2 shown]
	ds_read_b64 v[68:69], v72 offset:7920
	s_waitcnt lgkmcnt(5)
	v_mov_b32_e32 v98, v59
	s_waitcnt lgkmcnt(3)
	v_mov_b32_e32 v111, v52
	v_mov_b32_e32 v110, v63
	s_waitcnt lgkmcnt(2)
	v_mov_b32_e32 v104, v66
	;; [unrolled: 3-line block ×3, first 2 shown]
	v_mov_b32_e32 v52, v53
	v_mov_b32_e32 v53, v62
	;; [unrolled: 1-line block ×5, first 2 shown]
	v_mov_b64_e32 v[100:101], v[102:103]
.LBB0_11:
	s_or_b64 exec, exec, s[2:3]
	v_mov_b32_e32 v70, v9
	v_mov_b32_e32 v66, v97
	v_pk_mul_f32 v[70:71], v[70:71], v[98:99]
	v_pk_mul_f32 v[102:103], v[4:5], v[100:101] op_sel:[0,1]
	v_pk_fma_f32 v[66:67], v[8:9], v[66:67], v[70:71]
	v_pk_mul_f32 v[70:71], v[8:9], v[96:97]
	v_pk_mul_f32 v[108:109], v[0:1], v[64:65] op_sel:[0,1]
	v_mov_b32_e32 v70, v71
	v_pk_fma_f32 v[70:71], v[8:9], v[98:99], v[70:71] neg_lo:[0,0,1] neg_hi:[0,0,1]
	v_pk_mul_f32 v[8:9], v[10:11], v[96:97] op_sel_hi:[1,0]
	v_pk_mul_f32 v[114:115], v[2:3], v[60:61] op_sel:[0,1]
	s_waitcnt lgkmcnt(0)
	v_pk_mul_f32 v[134:135], v[14:15], v[68:69] op_sel:[0,1]
	v_pk_mul_f32 v[106:107], v[6:7], v[104:105] op_sel:[0,1]
	v_pk_mul_f32 v[122:123], v[18:19], v[52:53] op_sel_hi:[1,0]
	v_pk_fma_f32 v[96:97], v[10:11], v[98:99], v[8:9] op_sel:[0,1,1] op_sel_hi:[1,1,0]
	v_pk_fma_f32 v[112:113], v[10:11], v[98:99], v[8:9] op_sel:[0,1,1] op_sel_hi:[1,1,0] neg_lo:[1,0,0] neg_hi:[1,0,0]
	v_pk_fma_f32 v[98:99], v[4:5], v[100:101], v[102:103] op_sel:[0,0,1] op_sel_hi:[1,0,0]
	v_pk_fma_f32 v[116:117], v[4:5], v[100:101], v[102:103] op_sel:[0,0,1] op_sel_hi:[1,0,0] neg_lo:[1,0,0] neg_hi:[1,0,0]
	;; [unrolled: 2-line block ×4, first 2 shown]
	v_pk_fma_f32 v[114:115], v[14:15], v[68:69], v[134:135] op_sel:[0,0,1] op_sel_hi:[1,0,0]
	v_pk_mul_f32 v[124:125], v[12:13], v[54:55] op_sel:[0,1]
	v_pk_fma_f32 v[108:109], v[18:19], v[110:111], v[122:123] op_sel:[0,1,1] op_sel_hi:[1,1,0]
	v_pk_fma_f32 v[128:129], v[18:19], v[110:111], v[122:123] op_sel:[0,1,1] op_sel_hi:[1,1,0] neg_lo:[1,0,0] neg_hi:[1,0,0]
	v_pk_fma_f32 v[122:123], v[14:15], v[68:69], v[134:135] op_sel:[0,0,1] op_sel_hi:[1,0,0] neg_lo:[1,0,0] neg_hi:[1,0,0]
	v_pk_add_f32 v[0:1], v[66:67], v[114:115]
	v_pk_add_f32 v[2:3], v[66:67], v[114:115] neg_lo:[0,1] neg_hi:[0,1]
	v_pk_mul_f32 v[118:119], v[16:17], v[110:111] op_sel_hi:[1,0]
	v_pk_fma_f32 v[110:111], v[12:13], v[54:55], v[124:125] op_sel:[0,0,1] op_sel_hi:[1,0,0]
	v_pk_fma_f32 v[124:125], v[12:13], v[54:55], v[124:125] op_sel:[0,0,1] op_sel_hi:[1,0,0] neg_lo:[1,0,0] neg_hi:[1,0,0]
	v_mov_b32_e32 v1, v2
	v_pk_add_f32 v[12:13], v[70:71], v[122:123] op_sel:[0,1] neg_lo:[0,1] neg_hi:[0,1]
	v_pk_add_f32 v[2:3], v[70:71], v[122:123] op_sel_hi:[0,1]
	s_mov_b32 s2, 0x3ed4b147
	v_mov_b32_e32 v13, v3
	s_mov_b32 s20, 0xbf68dda4
	s_mov_b32 s21, s2
	v_pk_mul_f32 v[60:61], v[12:13], s[20:21]
	s_mov_b32 s3, s20
	v_pk_fma_f32 v[100:101], v[6:7], v[64:65], v[106:107] op_sel:[0,0,1] op_sel_hi:[1,0,0]
	v_pk_fma_f32 v[120:121], v[6:7], v[64:65], v[106:107] op_sel:[0,0,1] op_sel_hi:[1,0,0] neg_lo:[1,0,0] neg_hi:[1,0,0]
	v_pk_fma_f32 v[2:3], v[0:1], s[2:3], v[60:61] neg_lo:[0,0,1] neg_hi:[0,0,1]
	v_pk_fma_f32 v[64:65], v[0:1], s[2:3], v[60:61]
	v_pk_add_f32 v[6:7], v[96:97], v[110:111] neg_lo:[0,1] neg_hi:[0,1]
	v_mov_b32_e32 v3, v65
	v_pk_add_f32 v[4:5], v[56:57], v[2:3]
	v_pk_add_f32 v[2:3], v[96:97], v[110:111]
	;; [unrolled: 1-line block ×3, first 2 shown]
	v_mov_b32_e32 v3, v6
	v_pk_add_f32 v[6:7], v[112:113], v[124:125] neg_lo:[0,1] neg_hi:[0,1]
	s_mov_b32 s16, 0xbf4178ce
	v_mov_b32_e32 v14, v7
	s_mov_b32 s17, 0xbf27a4f4
	v_pk_mul_f32 v[68:69], v[14:15], s[16:17]
	s_mov_b32 s8, s17
	s_mov_b32 s9, s16
	v_pk_fma_f32 v[106:107], v[16:17], v[52:53], v[118:119] op_sel:[0,1,1] op_sel_hi:[1,1,0]
	v_pk_fma_f32 v[130:131], v[16:17], v[52:53], v[118:119] op_sel:[0,1,1] op_sel_hi:[1,1,0] neg_lo:[1,0,0] neg_hi:[1,0,0]
	v_pk_fma_f32 v[6:7], v[2:3], s[8:9], v[68:69] neg_lo:[0,0,1] neg_hi:[0,0,1]
	v_pk_fma_f32 v[118:119], v[2:3], s[8:9], v[68:69]
	v_pk_add_f32 v[8:9], v[98:99], v[108:109] neg_lo:[0,1] neg_hi:[0,1]
	v_mov_b32_e32 v7, v119
	v_pk_add_f32 v[6:7], v[6:7], v[4:5]
	v_pk_add_f32 v[4:5], v[98:99], v[108:109]
	;; [unrolled: 1-line block ×3, first 2 shown]
	v_mov_b32_e32 v5, v8
	v_pk_add_f32 v[8:9], v[116:117], v[128:129] neg_lo:[0,1] neg_hi:[0,1]
	s_mov_b32 s34, 0x3e903f40
	v_mov_b32_e32 v16, v9
	s_mov_b32 s35, 0xbf75a155
	v_pk_mul_f32 v[134:135], v[16:17], s[34:35]
	s_mov_b32 s10, s35
	s_mov_b32 s11, s34
	v_pk_fma_f32 v[8:9], v[4:5], s[10:11], v[134:135] neg_lo:[0,0,1] neg_hi:[0,0,1]
	v_pk_fma_f32 v[136:137], v[4:5], s[10:11], v[134:135]
	v_pk_add_f32 v[10:11], v[100:101], v[106:107] neg_lo:[0,1] neg_hi:[0,1]
	v_mov_b32_e32 v9, v137
	v_pk_add_f32 v[6:7], v[8:9], v[6:7]
	v_pk_add_f32 v[8:9], v[100:101], v[106:107]
	;; [unrolled: 1-line block ×3, first 2 shown]
	v_mov_b32_e32 v9, v10
	v_pk_add_f32 v[10:11], v[120:121], v[130:131] neg_lo:[0,1] neg_hi:[0,1]
	s_mov_b32 s28, 0x3f7d64f0
	v_mov_b32_e32 v18, v11
	s_mov_b32 s29, 0xbe11bafb
	v_pk_mul_f32 v[138:139], v[18:19], s[28:29]
	s_mov_b32 s18, s29
	s_mov_b32 s19, s28
	v_pk_fma_f32 v[10:11], v[8:9], s[18:19], v[138:139] neg_lo:[0,0,1] neg_hi:[0,0,1]
	v_pk_fma_f32 v[140:141], v[8:9], s[18:19], v[138:139]
	s_mov_b32 s36, 0xbf0a6770
	v_mov_b32_e32 v11, v141
	v_pk_add_f32 v[6:7], v[10:11], v[6:7]
	v_pk_add_f32 v[10:11], v[102:103], v[104:105]
	v_pk_add_f32 v[52:53], v[102:103], v[104:105] neg_lo:[0,1] neg_hi:[0,1]
	s_mov_b32 s37, 0x3f575c64
	v_mov_b32_e32 v11, v52
	v_pk_add_f32 v[52:53], v[126:127], v[132:133] neg_lo:[0,1] neg_hi:[0,1]
	v_pk_add_f32 v[54:55], v[126:127], v[132:133]
	v_pk_mul_f32 v[142:143], v[12:13], s[36:37]
	s_mov_b32 s14, s37
	s_mov_b32 s15, s36
	v_mov_b32_e32 v54, v53
	v_pk_fma_f32 v[52:53], v[0:1], s[14:15], v[142:143] neg_lo:[0,0,1] neg_hi:[0,0,1]
	v_pk_fma_f32 v[144:145], v[0:1], s[14:15], v[142:143]
	v_pk_mul_f32 v[148:149], v[14:15], s[20:21]
	v_mov_b32_e32 v53, v145
	v_pk_fma_f32 v[150:151], v[2:3], s[2:3], v[148:149] neg_lo:[0,0,1] neg_hi:[0,0,1]
	v_pk_fma_f32 v[146:147], v[2:3], s[2:3], v[148:149]
	s_mov_b32 s26, 0xbf7d64f0
	s_mov_b32 s27, s29
	v_pk_add_f32 v[52:53], v[56:57], v[52:53]
	v_mov_b32_e32 v151, v147
	v_pk_mul_f32 v[152:153], v[16:17], s[26:27]
	s_mov_b32 s20, s29
	s_mov_b32 s21, s26
	v_pk_add_f32 v[52:53], v[150:151], v[52:53]
	v_pk_fma_f32 v[150:151], v[4:5], s[20:21], v[152:153] neg_lo:[0,0,1] neg_hi:[0,0,1]
	v_pk_fma_f32 v[156:157], v[4:5], s[20:21], v[152:153]
	v_pk_mul_f32 v[160:161], v[18:19], s[16:17]
	v_mov_b32_e32 v151, v157
	v_pk_add_f32 v[52:53], v[150:151], v[52:53]
	v_pk_fma_f32 v[150:151], v[8:9], s[8:9], v[160:161] neg_lo:[0,0,1] neg_hi:[0,0,1]
	v_pk_fma_f32 v[158:159], v[8:9], s[8:9], v[160:161]
	s_mov_b32 s38, 0xbe903f40
	s_mov_b32 s39, s35
	v_mov_b32_e32 v151, v159
	v_pk_mul_f32 v[162:163], v[54:55], s[38:39]
	s_mov_b32 s24, s35
	s_mov_b32 s25, s38
	v_pk_add_f32 v[52:53], v[150:151], v[52:53]
	v_pk_fma_f32 v[150:151], v[10:11], s[24:25], v[162:163] neg_lo:[0,0,1] neg_hi:[0,0,1]
	v_pk_fma_f32 v[164:165], v[10:11], s[24:25], v[162:163]
	s_mov_b32 s40, 0x3f0a6770
	v_mov_b32_e32 v151, v165
	s_mov_b32 s41, s37
	v_pk_add_f32 v[52:53], v[150:151], v[52:53]
	v_pk_mul_f32 v[150:151], v[54:55], s[40:41]
	s_mov_b32 s30, s37
	s_mov_b32 s31, s40
	v_pk_fma_f32 v[170:171], v[10:11], s[30:31], v[150:151] neg_lo:[0,0,1] neg_hi:[0,0,1]
	v_pk_fma_f32 v[154:155], v[10:11], s[30:31], v[150:151]
	v_mov_b32_e32 v62, v20
	v_mov_b32_e32 v171, v155
	;; [unrolled: 1-line block ×7, first 2 shown]
	v_pk_add_f32 v[6:7], v[170:171], v[6:7]
	s_barrier
	s_and_saveexec_b64 s[22:23], vcc
	s_cbranch_execz .LBB0_13
; %bb.12:
	v_mov_b32_e32 v67, v70
	v_mov_b32_e32 v97, v113
	v_pk_add_f32 v[66:67], v[56:57], v[66:67]
	v_mov_b32_e32 v99, v117
	v_pk_add_f32 v[66:67], v[96:97], v[66:67]
	v_pk_mul_f32 v[170:171], v[0:1], s[2:3]
	v_pk_mul_f32 v[178:179], v[0:1], s[14:15]
	v_mov_b32_e32 v101, v121
	v_pk_add_f32 v[66:67], v[98:99], v[66:67]
	v_pk_mul_f32 v[180:181], v[2:3], s[2:3]
	v_mov_b32_e32 v103, v127
	v_pk_add_f32 v[66:67], v[100:101], v[66:67]
	v_pk_add_f32 v[70:71], v[142:143], v[178:179] neg_lo:[0,1] neg_hi:[0,1]
	v_pk_add_f32 v[60:61], v[60:61], v[170:171] neg_lo:[0,1] neg_hi:[0,1]
	v_pk_mul_f32 v[172:173], v[2:3], s[8:9]
	v_pk_mul_f32 v[182:183], v[4:5], s[20:21]
	v_mov_b32_e32 v105, v133
	v_pk_add_f32 v[66:67], v[102:103], v[66:67]
	v_mov_b32_e32 v145, v71
	v_pk_add_f32 v[96:97], v[148:149], v[180:181] neg_lo:[0,1] neg_hi:[0,1]
	v_mov_b32_e32 v65, v61
	v_pk_mul_f32 v[174:175], v[4:5], s[10:11]
	v_pk_mul_f32 v[184:185], v[8:9], s[8:9]
	v_mov_b32_e32 v107, v131
	v_pk_add_f32 v[66:67], v[104:105], v[66:67]
	v_pk_add_f32 v[70:71], v[56:57], v[144:145]
	v_mov_b32_e32 v147, v97
	v_pk_add_f32 v[96:97], v[152:153], v[182:183] neg_lo:[0,1] neg_hi:[0,1]
	v_pk_add_f32 v[60:61], v[56:57], v[64:65]
	v_pk_add_f32 v[64:65], v[68:69], v[172:173] neg_lo:[0,1] neg_hi:[0,1]
	v_pk_mul_f32 v[176:177], v[8:9], s[18:19]
	v_pk_mul_f32 v[186:187], v[10:11], s[24:25]
	v_mov_b32_e32 v109, v129
	v_pk_add_f32 v[66:67], v[106:107], v[66:67]
	v_pk_add_f32 v[70:71], v[146:147], v[70:71]
	v_mov_b32_e32 v157, v97
	v_pk_add_f32 v[96:97], v[160:161], v[184:185] neg_lo:[0,1] neg_hi:[0,1]
	v_mov_b32_e32 v119, v65
	v_pk_add_f32 v[64:65], v[134:135], v[174:175] neg_lo:[0,1] neg_hi:[0,1]
	v_pk_mul_f32 v[188:189], v[10:11], s[30:31]
	v_mov_b32_e32 v111, v125
	v_pk_add_f32 v[66:67], v[108:109], v[66:67]
	v_pk_add_f32 v[70:71], v[156:157], v[70:71]
	v_mov_b32_e32 v159, v97
	v_pk_add_f32 v[96:97], v[162:163], v[186:187] neg_lo:[0,1] neg_hi:[0,1]
	v_mov_b32_e32 v137, v65
	v_pk_add_f32 v[64:65], v[138:139], v[176:177] neg_lo:[0,1] neg_hi:[0,1]
	v_mov_b32_e32 v115, v123
	v_pk_add_f32 v[66:67], v[110:111], v[66:67]
	v_pk_add_f32 v[70:71], v[158:159], v[70:71]
	v_mov_b32_e32 v165, v97
	v_mov_b32_e32 v141, v65
	v_pk_add_f32 v[64:65], v[150:151], v[188:189] neg_lo:[0,1] neg_hi:[0,1]
	v_add_lshl_u32 v73, v166, v73, 3
	v_pk_add_f32 v[66:67], v[114:115], v[66:67]
	v_pk_add_f32 v[70:71], v[164:165], v[70:71]
	v_mov_b32_e32 v155, v65
	v_pk_mul_f32 v[64:65], v[12:13], s[26:27]
	ds_write2_b64 v73, v[66:67], v[70:71] offset1:3
	v_pk_fma_f32 v[66:67], v[0:1], s[20:21], v[64:65]
	v_pk_fma_f32 v[68:69], v[0:1], s[20:21], v[64:65] neg_lo:[1,0,0] neg_hi:[1,0,0]
	v_pk_mul_f32 v[70:71], v[14:15], s[34:35]
	v_mov_b32_e32 v68, v66
	v_pk_fma_f32 v[96:97], v[2:3], s[10:11], v[70:71]
	v_pk_fma_f32 v[98:99], v[2:3], s[10:11], v[70:71] neg_lo:[1,0,0] neg_hi:[1,0,0]
	s_mov_b32 s3, 0x3f68dda4
	v_pk_add_f32 v[68:69], v[56:57], v[68:69]
	v_mov_b32_e32 v98, v96
	s_mov_b32 s34, s3
	s_mov_b32 s35, s2
	v_pk_add_f32 v[68:69], v[98:99], v[68:69]
	v_pk_mul_f32 v[98:99], v[16:17], s[34:35]
	v_pk_add_f32 v[60:61], v[118:119], v[60:61]
	v_pk_fma_f32 v[100:101], v[4:5], s[2:3], v[98:99]
	v_pk_fma_f32 v[102:103], v[4:5], s[2:3], v[98:99] neg_lo:[1,0,0] neg_hi:[1,0,0]
	v_pk_add_f32 v[60:61], v[136:137], v[60:61]
	v_mov_b32_e32 v102, v100
	v_pk_add_f32 v[68:69], v[102:103], v[68:69]
	v_pk_mul_f32 v[102:103], v[18:19], s[36:37]
	v_pk_add_f32 v[60:61], v[140:141], v[60:61]
	v_pk_fma_f32 v[104:105], v[8:9], s[14:15], v[102:103]
	v_pk_fma_f32 v[106:107], v[8:9], s[14:15], v[102:103] neg_lo:[1,0,0] neg_hi:[1,0,0]
	v_pk_add_f32 v[60:61], v[154:155], v[60:61]
	v_mov_b32_e32 v106, v104
	v_pk_add_f32 v[68:69], v[106:107], v[68:69]
	v_pk_mul_f32 v[106:107], v[54:55], s[16:17]
	v_pk_mul_f32 v[112:113], v[14:15], s[28:29]
	v_pk_fma_f32 v[108:109], v[10:11], s[8:9], v[106:107]
	v_pk_fma_f32 v[110:111], v[10:11], s[8:9], v[106:107] neg_lo:[1,0,0] neg_hi:[1,0,0]
	v_pk_fma_f32 v[114:115], v[2:3], s[18:19], v[112:113]
	v_mov_b32_e32 v110, v108
	v_pk_add_f32 v[68:69], v[110:111], v[68:69]
	ds_write2_b64 v73, v[60:61], v[68:69] offset0:6 offset1:9
	v_pk_mul_f32 v[60:61], v[12:13], s[16:17]
	v_pk_fma_f32 v[116:117], v[2:3], s[18:19], v[112:113] neg_lo:[1,0,0] neg_hi:[1,0,0]
	v_pk_fma_f32 v[68:69], v[0:1], s[8:9], v[60:61]
	v_pk_fma_f32 v[110:111], v[0:1], s[8:9], v[60:61] neg_lo:[1,0,0] neg_hi:[1,0,0]
	v_mov_b32_e32 v116, v114
	v_mov_b32_e32 v110, v68
	v_pk_add_f32 v[110:111], v[56:57], v[110:111]
	v_pk_mul_f32 v[12:13], v[12:13], s[38:39]
	v_pk_add_f32 v[110:111], v[116:117], v[110:111]
	v_pk_mul_f32 v[116:117], v[16:17], s[36:37]
	v_pk_fma_f32 v[130:131], v[0:1], s[24:25], v[12:13] neg_lo:[1,0,0] neg_hi:[1,0,0]
	v_pk_fma_f32 v[118:119], v[4:5], s[14:15], v[116:117]
	v_pk_fma_f32 v[120:121], v[4:5], s[14:15], v[116:117] neg_lo:[1,0,0] neg_hi:[1,0,0]
	v_pk_mul_f32 v[14:15], v[14:15], s[40:41]
	v_mov_b32_e32 v120, v118
	v_pk_add_f32 v[110:111], v[120:121], v[110:111]
	v_pk_mul_f32 v[120:121], v[18:19], s[38:39]
	v_pk_fma_f32 v[132:133], v[2:3], s[30:31], v[14:15]
	v_pk_fma_f32 v[122:123], v[8:9], s[24:25], v[120:121]
	v_pk_fma_f32 v[124:125], v[8:9], s[24:25], v[120:121] neg_lo:[1,0,0] neg_hi:[1,0,0]
	v_pk_fma_f32 v[134:135], v[2:3], s[30:31], v[14:15] neg_lo:[1,0,0] neg_hi:[1,0,0]
	v_mov_b32_e32 v124, v122
	v_pk_add_f32 v[110:111], v[124:125], v[110:111]
	v_pk_mul_f32 v[124:125], v[54:55], s[34:35]
	v_pk_fma_f32 v[14:15], v[2:3], s[30:31], v[14:15] neg_lo:[0,0,1] neg_hi:[0,0,1]
	v_pk_fma_f32 v[126:127], v[10:11], s[2:3], v[124:125]
	v_pk_fma_f32 v[128:129], v[10:11], s[2:3], v[124:125] neg_lo:[1,0,0] neg_hi:[1,0,0]
	v_mov_b32_e32 v134, v132
	v_mov_b32_e32 v128, v126
	v_pk_add_f32 v[110:111], v[128:129], v[110:111]
	v_pk_fma_f32 v[128:129], v[0:1], s[24:25], v[12:13]
	v_pk_fma_f32 v[12:13], v[0:1], s[24:25], v[12:13] neg_lo:[0,0,1] neg_hi:[0,0,1]
	v_mov_b32_e32 v130, v128
	v_mov_b32_e32 v13, v129
	v_pk_add_f32 v[130:131], v[56:57], v[130:131]
	v_pk_mul_f32 v[16:17], v[16:17], s[16:17]
	v_pk_add_f32 v[12:13], v[56:57], v[12:13]
	v_mov_b32_e32 v15, v133
	v_pk_add_f32 v[130:131], v[134:135], v[130:131]
	v_pk_fma_f32 v[134:135], v[4:5], s[8:9], v[16:17]
	v_pk_fma_f32 v[136:137], v[4:5], s[8:9], v[16:17] neg_lo:[1,0,0] neg_hi:[1,0,0]
	v_pk_add_f32 v[12:13], v[14:15], v[12:13]
	v_pk_fma_f32 v[14:15], v[4:5], s[8:9], v[16:17] neg_lo:[0,0,1] neg_hi:[0,0,1]
	v_mov_b32_e32 v136, v134
	v_pk_mul_f32 v[18:19], v[18:19], s[34:35]
	v_mov_b32_e32 v15, v135
	v_pk_add_f32 v[130:131], v[136:137], v[130:131]
	v_pk_fma_f32 v[136:137], v[8:9], s[2:3], v[18:19]
	v_pk_fma_f32 v[138:139], v[8:9], s[2:3], v[18:19] neg_lo:[1,0,0] neg_hi:[1,0,0]
	v_pk_add_f32 v[12:13], v[14:15], v[12:13]
	v_pk_fma_f32 v[14:15], v[8:9], s[2:3], v[18:19] neg_lo:[0,0,1] neg_hi:[0,0,1]
	v_mov_b32_e32 v138, v136
	v_pk_mul_f32 v[54:55], v[54:55], s[26:27]
	v_mov_b32_e32 v15, v137
	v_pk_add_f32 v[130:131], v[138:139], v[130:131]
	v_pk_fma_f32 v[138:139], v[10:11], s[20:21], v[54:55]
	v_pk_add_f32 v[12:13], v[14:15], v[12:13]
	v_pk_fma_f32 v[14:15], v[10:11], s[20:21], v[54:55] neg_lo:[0,0,1] neg_hi:[0,0,1]
	v_pk_fma_f32 v[16:17], v[2:3], s[18:19], v[112:113] neg_lo:[0,0,1] neg_hi:[0,0,1]
	v_mov_b32_e32 v15, v139
	v_pk_add_f32 v[12:13], v[14:15], v[12:13]
	v_pk_fma_f32 v[14:15], v[0:1], s[8:9], v[60:61] neg_lo:[0,0,1] neg_hi:[0,0,1]
	v_pk_fma_f32 v[0:1], v[0:1], s[20:21], v[64:65] neg_lo:[0,0,1] neg_hi:[0,0,1]
	v_mov_b32_e32 v15, v69
	v_mov_b32_e32 v1, v67
	v_pk_fma_f32 v[2:3], v[2:3], s[10:11], v[70:71] neg_lo:[0,0,1] neg_hi:[0,0,1]
	v_pk_add_f32 v[14:15], v[56:57], v[14:15]
	v_mov_b32_e32 v17, v115
	v_pk_add_f32 v[0:1], v[56:57], v[0:1]
	v_mov_b32_e32 v3, v97
	v_pk_add_f32 v[14:15], v[16:17], v[14:15]
	v_pk_fma_f32 v[16:17], v[4:5], s[14:15], v[116:117] neg_lo:[0,0,1] neg_hi:[0,0,1]
	v_pk_add_f32 v[0:1], v[2:3], v[0:1]
	v_pk_fma_f32 v[2:3], v[4:5], s[2:3], v[98:99] neg_lo:[0,0,1] neg_hi:[0,0,1]
	v_mov_b32_e32 v17, v119
	v_mov_b32_e32 v3, v101
	v_pk_add_f32 v[14:15], v[16:17], v[14:15]
	v_pk_fma_f32 v[16:17], v[8:9], s[24:25], v[120:121] neg_lo:[0,0,1] neg_hi:[0,0,1]
	v_pk_add_f32 v[0:1], v[2:3], v[0:1]
	v_pk_fma_f32 v[2:3], v[8:9], s[14:15], v[102:103] neg_lo:[0,0,1] neg_hi:[0,0,1]
	v_mov_b32_e32 v17, v123
	v_mov_b32_e32 v3, v105
	v_pk_fma_f32 v[140:141], v[10:11], s[20:21], v[54:55] neg_lo:[1,0,0] neg_hi:[1,0,0]
	v_pk_add_f32 v[14:15], v[16:17], v[14:15]
	v_pk_fma_f32 v[16:17], v[10:11], s[2:3], v[124:125] neg_lo:[0,0,1] neg_hi:[0,0,1]
	v_pk_add_f32 v[0:1], v[2:3], v[0:1]
	v_pk_fma_f32 v[2:3], v[10:11], s[8:9], v[106:107] neg_lo:[0,0,1] neg_hi:[0,0,1]
	v_mov_b32_e32 v140, v138
	v_mov_b32_e32 v17, v127
	;; [unrolled: 1-line block ×3, first 2 shown]
	v_pk_add_f32 v[130:131], v[140:141], v[130:131]
	v_pk_add_f32 v[14:15], v[16:17], v[14:15]
	;; [unrolled: 1-line block ×3, first 2 shown]
	ds_write2_b64 v73, v[110:111], v[130:131] offset0:12 offset1:15
	ds_write2_b64 v73, v[12:13], v[14:15] offset0:18 offset1:21
	;; [unrolled: 1-line block ×3, first 2 shown]
	ds_write_b64 v73, v[52:53] offset:240
.LBB0_13:
	s_or_b64 exec, exec, s[22:23]
	v_add_u32_e32 v0, 0x400, v72
	s_waitcnt lgkmcnt(0)
	s_barrier
	ds_read2_b64 v[0:3], v0 offset0:114 offset1:235
	v_add_u32_e32 v4, 0x1400, v72
	ds_read2_b64 v[8:11], v4 offset0:86 offset1:207
	v_add_u32_e32 v4, 0xc00, v72
	ds_read2_b64 v[12:15], v4 offset0:100 offset1:221
	ds_read2_b64 v[16:19], v72 offset1:121
	s_waitcnt lgkmcnt(3)
	v_pk_mul_f32 v[54:55], v[28:29], v[2:3] op_sel_hi:[1,0]
	v_mov_b32_e32 v4, v3
	v_pk_fma_f32 v[2:3], v[28:29], v[2:3], v[54:55] op_sel:[0,1,1] op_sel_hi:[1,1,0]
	v_pk_fma_f32 v[4:5], v[28:29], v[4:5], v[54:55] op_sel:[0,0,1] op_sel_hi:[1,1,0] neg_lo:[0,0,1] neg_hi:[0,0,1]
	s_waitcnt lgkmcnt(2)
	v_mov_b32_e32 v2, v9
	v_pk_mul_f32 v[28:29], v[30:31], v[8:9] op_sel_hi:[1,0]
	v_mov_b32_e32 v5, v3
	v_pk_fma_f32 v[54:55], v[30:31], v[2:3], v[28:29] op_sel:[0,0,1] op_sel_hi:[1,1,0] neg_lo:[0,0,1] neg_hi:[0,0,1]
	v_pk_fma_f32 v[8:9], v[30:31], v[8:9], v[28:29] op_sel:[0,1,1] op_sel_hi:[1,1,0]
	v_mov_b32_e32 v30, v3
	v_mov_b32_e32 v31, v4
	;; [unrolled: 1-line block ×5, first 2 shown]
	v_pk_add_f32 v[2:3], v[30:31], v[56:57]
	v_pk_add_f32 v[4:5], v[4:5], v[54:55] neg_lo:[0,1] neg_hi:[0,1]
	s_waitcnt lgkmcnt(0)
	v_pk_fma_f32 v[2:3], v[2:3], 0.5, v[16:17] op_sel_hi:[1,0,1] neg_lo:[1,0,0] neg_hi:[1,0,0]
	s_mov_b32 s2, 0x3f5db3d7
	v_pk_fma_f32 v[28:29], v[4:5], s[2:3], v[2:3] op_sel_hi:[1,0,1]
	v_pk_fma_f32 v[2:3], v[4:5], s[2:3], v[2:3] op_sel_hi:[1,0,1] neg_lo:[1,0,0] neg_hi:[1,0,0]
	v_mov_b32_e32 v4, v13
	v_pk_mul_f32 v[8:9], v[24:25], v[12:13] op_sel_hi:[1,0]
	s_nop 0
	v_pk_fma_f32 v[4:5], v[24:25], v[4:5], v[8:9] op_sel:[0,0,1] op_sel_hi:[1,1,0] neg_lo:[0,0,1] neg_hi:[0,0,1]
	v_pk_fma_f32 v[8:9], v[24:25], v[12:13], v[8:9] op_sel:[0,1,1] op_sel_hi:[1,1,0]
	v_pk_mul_f32 v[12:13], v[26:27], v[10:11] op_sel_hi:[1,0]
	v_mov_b32_e32 v8, v11
	v_pk_fma_f32 v[24:25], v[26:27], v[8:9], v[12:13] op_sel:[0,0,1] op_sel_hi:[1,1,0] neg_lo:[0,0,1] neg_hi:[0,0,1]
	v_pk_fma_f32 v[10:11], v[26:27], v[10:11], v[12:13] op_sel:[0,1,1] op_sel_hi:[1,1,0]
	v_mov_b32_e32 v5, v9
	v_mov_b32_e32 v25, v11
	;; [unrolled: 1-line block ×6, first 2 shown]
	v_pk_add_f32 v[12:13], v[8:9], v[10:11]
	v_pk_add_f32 v[4:5], v[4:5], v[24:25] neg_lo:[0,1] neg_hi:[0,1]
	v_pk_fma_f32 v[12:13], v[12:13], 0.5, v[18:19] op_sel_hi:[1,0,1] neg_lo:[1,0,0] neg_hi:[1,0,0]
	v_pk_add_f32 v[8:9], v[18:19], v[8:9]
	v_pk_fma_f32 v[24:25], v[4:5], s[2:3], v[12:13] op_sel_hi:[1,0,1]
	v_pk_add_f32 v[18:19], v[8:9], v[10:11]
	v_pk_fma_f32 v[8:9], v[4:5], s[2:3], v[12:13] op_sel_hi:[1,0,1] neg_lo:[1,0,0] neg_hi:[1,0,0]
	ds_read_b64 v[4:5], v72 offset:7744
	v_pk_mul_f32 v[10:11], v[20:21], v[14:15]
	s_waitcnt lgkmcnt(0)
	v_pk_fma_f32 v[20:21], v[62:63], v[14:15], v[10:11] op_sel:[0,0,1] op_sel_hi:[1,1,0]
	v_pk_fma_f32 v[10:11], v[62:63], v[14:15], v[10:11] op_sel:[0,0,1] op_sel_hi:[1,1,0] neg_lo:[0,0,1] neg_hi:[0,0,1]
	s_barrier
	v_mov_b32_e32 v21, v11
	v_pk_mul_f32 v[10:11], v[22:23], v[4:5]
	s_nop 0
	v_pk_fma_f32 v[14:15], v[58:59], v[4:5], v[10:11] op_sel:[0,0,1] op_sel_hi:[1,1,0]
	v_pk_fma_f32 v[4:5], v[58:59], v[4:5], v[10:11] op_sel:[0,0,1] op_sel_hi:[1,1,0] neg_lo:[0,0,1] neg_hi:[0,0,1]
	s_nop 0
	v_mov_b32_e32 v15, v5
	v_pk_add_f32 v[4:5], v[0:1], v[20:21]
	s_nop 0
	v_pk_add_f32 v[12:13], v[4:5], v[14:15]
	v_pk_add_f32 v[4:5], v[20:21], v[14:15]
	s_nop 0
	v_pk_fma_f32 v[0:1], v[4:5], 0.5, v[0:1] op_sel_hi:[1,0,1] neg_lo:[1,0,0] neg_hi:[1,0,0]
	v_pk_add_f32 v[4:5], v[20:21], v[14:15] neg_lo:[0,1] neg_hi:[0,1]
	s_nop 0
	v_pk_mul_f32 v[4:5], v[4:5], s[2:3] op_sel_hi:[1,0]
	s_nop 0
	v_pk_add_f32 v[20:21], v[4:5], v[0:1] op_sel:[1,0] op_sel_hi:[0,1]
	v_pk_add_f32 v[14:15], v[0:1], v[4:5] op_sel:[0,1] op_sel_hi:[1,0] neg_lo:[0,1] neg_hi:[0,1]
	v_pk_add_f32 v[0:1], v[16:17], v[30:31]
	v_mov_b32_e32 v4, v2
	v_pk_add_f32 v[0:1], v[0:1], v[56:57]
	v_mov_b32_e32 v5, v29
	ds_write2_b64 v167, v[0:1], v[4:5] offset1:33
	v_mov_b32_e32 v4, v28
	v_mov_b32_e32 v5, v3
	ds_write_b64 v167, v[4:5] offset:528
	v_mov_b32_e32 v4, v8
	v_mov_b32_e32 v5, v25
	ds_write2_b64 v168, v[18:19], v[4:5] offset1:33
	v_mov_b32_e32 v4, v24
	v_mov_b32_e32 v5, v9
	ds_write_b64 v168, v[4:5] offset:528
	v_mov_b32_e32 v4, v14
	v_mov_b32_e32 v5, v21
	ds_write2_b64 v169, v[12:13], v[4:5] offset1:33
	v_mov_b32_e32 v4, v20
	v_mov_b32_e32 v5, v15
	ds_write_b64 v169, v[4:5] offset:528
	s_waitcnt lgkmcnt(0)
	s_barrier
	s_and_saveexec_b64 s[2:3], s[0:1]
	s_xor_b64 s[0:1], exec, s[2:3]
	s_andn2_saveexec_b64 s[0:1], s[0:1]
	s_cbranch_execz .LBB0_15
; %bb.14:
	ds_read2_b64 v[0:3], v72 offset1:99
	v_add_u32_e32 v16, 0x400, v72
	v_add_u32_e32 v8, 0x800, v72
	;; [unrolled: 1-line block ×4, first 2 shown]
	ds_read2_b64 v[4:7], v4 offset0:24 offset1:123
	ds_read2_b64 v[12:15], v9 offset0:82 offset1:181
	;; [unrolled: 1-line block ×4, first 2 shown]
	ds_read_b64 v[52:53], v72 offset:7920
	s_waitcnt lgkmcnt(4)
	v_mov_b32_e32 v20, v4
	s_waitcnt lgkmcnt(3)
	v_mov_b32_e32 v21, v15
	;; [unrolled: 2-line block ×3, first 2 shown]
	v_mov_b32_e32 v25, v9
	s_waitcnt lgkmcnt(1)
	v_mov_b32_e32 v28, v16
	v_mov_b32_e32 v29, v3
	;; [unrolled: 1-line block ×5, first 2 shown]
.LBB0_15:
	s_or_b64 exec, exec, s[0:1]
	s_and_saveexec_b64 s[0:1], vcc
	s_cbranch_execz .LBB0_17
; %bb.16:
	s_waitcnt lgkmcnt(0)
	v_pk_mul_f32 v[4:5], v[50:51], v[52:53] op_sel:[0,1]
	v_pk_mul_f32 v[22:23], v[34:35], v[28:29] op_sel_hi:[1,0]
	v_pk_fma_f32 v[60:61], v[50:51], v[52:53], v[4:5] op_sel:[0,0,1] op_sel_hi:[1,1,0]
	v_pk_fma_f32 v[4:5], v[50:51], v[52:53], v[4:5] op_sel:[0,0,1] op_sel_hi:[1,0,0] neg_lo:[1,0,0] neg_hi:[1,0,0]
	v_pk_mul_f32 v[16:17], v[48:49], v[6:7] op_sel:[0,1]
	v_mov_b32_e32 v61, v5
	v_pk_fma_f32 v[4:5], v[34:35], v[2:3], v[22:23] op_sel:[1,1,0] op_sel_hi:[0,1,1]
	v_pk_fma_f32 v[22:23], v[34:35], v[2:3], v[22:23] op_sel:[1,1,0] op_sel_hi:[0,1,1] neg_lo:[0,0,1] neg_hi:[0,0,1]
	v_pk_mul_f32 v[10:11], v[32:33], v[28:29] op_sel:[0,1]
	v_pk_mul_f32 v[28:29], v[44:45], v[18:19] op_sel:[0,1]
	v_mov_b32_e32 v5, v23
	v_pk_fma_f32 v[22:23], v[48:49], v[6:7], v[16:17] op_sel:[0,0,1] op_sel_hi:[1,1,0]
	v_pk_fma_f32 v[6:7], v[48:49], v[6:7], v[16:17] op_sel:[0,0,1] op_sel_hi:[1,0,0] neg_lo:[1,0,0] neg_hi:[1,0,0]
	v_pk_mul_f32 v[26:27], v[42:43], v[14:15] op_sel:[0,1]
	v_mov_b32_e32 v23, v7
	v_pk_fma_f32 v[6:7], v[44:45], v[18:19], v[28:29] op_sel:[0,0,1] op_sel_hi:[1,1,0]
	v_pk_fma_f32 v[16:17], v[44:45], v[18:19], v[28:29] op_sel:[0,0,1] op_sel_hi:[1,0,0] neg_lo:[1,0,0] neg_hi:[1,0,0]
	;; [unrolled: 4-line block ×3, first 2 shown]
	v_pk_mul_f32 v[30:31], v[40:41], v[20:21] op_sel:[0,1]
	v_pk_mul_f32 v[58:59], v[36:37], v[8:9] op_sel:[0,1]
	v_mov_b32_e32 v17, v19
	v_pk_fma_f32 v[18:19], v[46:47], v[8:9], v[54:55] op_sel:[0,0,1] op_sel_hi:[1,1,0]
	v_pk_fma_f32 v[8:9], v[46:47], v[8:9], v[54:55] op_sel:[0,0,1] op_sel_hi:[1,0,0] neg_lo:[1,0,0] neg_hi:[1,0,0]
	v_pk_mul_f32 v[56:57], v[38:39], v[12:13] op_sel:[0,1]
	v_mov_b32_e32 v19, v9
	v_pk_fma_f32 v[8:9], v[40:41], v[14:15], v[30:31] op_sel:[0,0,1] op_sel_hi:[1,1,0]
	v_pk_fma_f32 v[14:15], v[40:41], v[14:15], v[30:31] op_sel:[0,0,1] op_sel_hi:[1,0,0] neg_lo:[1,0,0] neg_hi:[1,0,0]
	v_pk_fma_f32 v[20:21], v[36:37], v[24:25], v[58:59] op_sel:[0,0,1] op_sel_hi:[1,0,0] neg_lo:[1,0,0] neg_hi:[1,0,0]
	v_mov_b32_e32 v9, v15
	v_pk_fma_f32 v[14:15], v[36:37], v[24:25], v[58:59] op_sel:[0,0,1] op_sel_hi:[1,1,0]
	s_mov_b32 s18, 0xbf0a6770
	v_mov_b32_e32 v15, v21
	v_pk_fma_f32 v[20:21], v[38:39], v[12:13], v[56:57] op_sel:[0,0,1] op_sel_hi:[1,1,0]
	v_pk_fma_f32 v[12:13], v[38:39], v[12:13], v[56:57] op_sel:[0,0,1] op_sel_hi:[1,0,0] neg_lo:[1,0,0] neg_hi:[1,0,0]
	v_pk_add_f32 v[26:27], v[4:5], v[22:23] neg_lo:[0,1] neg_hi:[0,1]
	v_mov_b32_e32 v21, v13
	v_pk_fma_f32 v[12:13], v[32:33], v[2:3], v[10:11] op_sel:[0,0,1] op_sel_hi:[1,1,0]
	v_pk_fma_f32 v[2:3], v[32:33], v[2:3], v[10:11] op_sel:[0,0,1] op_sel_hi:[1,0,0] neg_lo:[1,0,0] neg_hi:[1,0,0]
	s_mov_b32 s8, 0x3f575c64
	v_mov_b32_e32 v13, v3
	v_pk_add_f32 v[10:11], v[12:13], v[60:61] neg_lo:[0,1] neg_hi:[0,1]
	v_pk_add_f32 v[2:3], v[60:61], v[12:13]
	v_pk_mul_f32 v[40:41], v[10:11], s[18:19] op_sel_hi:[1,0]
	s_mov_b32 s26, 0xbf68dda4
	v_pk_add_f32 v[24:25], v[22:23], v[4:5]
	v_pk_fma_f32 v[42:43], v[2:3], s[8:9], v[40:41] op_sel:[0,0,1] op_sel_hi:[1,0,0]
	v_pk_fma_f32 v[40:41], v[2:3], s[8:9], v[40:41] op_sel:[0,0,1] op_sel_hi:[1,0,0] neg_lo:[0,0,1] neg_hi:[0,0,1]
	s_mov_b32 s2, 0x3ed4b147
	v_pk_mul_f32 v[46:47], v[26:27], s[26:27] op_sel_hi:[1,0]
	v_mov_b32_e32 v44, v42
	v_mov_b32_e32 v45, v41
	v_pk_fma_f32 v[48:49], v[24:25], s[2:3], v[46:47] op_sel:[0,0,1] op_sel_hi:[1,0,0]
	v_pk_fma_f32 v[46:47], v[24:25], s[2:3], v[46:47] op_sel:[0,0,1] op_sel_hi:[1,0,0] neg_lo:[0,0,1] neg_hi:[0,0,1]
	v_pk_add_f32 v[30:31], v[6:7], v[16:17] neg_lo:[0,1] neg_hi:[0,1]
	v_pk_add_f32 v[44:45], v[0:1], v[44:45]
	v_mov_b32_e32 v50, v48
	v_mov_b32_e32 v51, v47
	s_mov_b32 s14, 0xbf7d64f0
	v_pk_add_f32 v[28:29], v[16:17], v[6:7]
	v_pk_add_f32 v[44:45], v[50:51], v[44:45]
	s_mov_b32 s10, 0xbe11bafb
	v_pk_mul_f32 v[50:51], v[30:31], s[14:15] op_sel_hi:[1,0]
	v_pk_add_f32 v[12:13], v[0:1], v[12:13]
	v_pk_fma_f32 v[52:53], v[28:29], s[10:11], v[50:51] op_sel:[0,0,1] op_sel_hi:[1,0,0]
	v_pk_fma_f32 v[50:51], v[28:29], s[10:11], v[50:51] op_sel:[0,0,1] op_sel_hi:[1,0,0] neg_lo:[0,0,1] neg_hi:[0,0,1]
	v_pk_add_f32 v[4:5], v[4:5], v[12:13]
	v_pk_add_f32 v[34:35], v[18:19], v[8:9] neg_lo:[0,1] neg_hi:[0,1]
	v_mov_b32_e32 v54, v52
	v_mov_b32_e32 v55, v51
	s_mov_b32 s20, 0xbf4178ce
	v_pk_add_f32 v[4:5], v[6:7], v[4:5]
	v_pk_add_f32 v[32:33], v[8:9], v[18:19]
	;; [unrolled: 1-line block ×3, first 2 shown]
	s_mov_b32 s16, 0xbf27a4f4
	v_pk_mul_f32 v[54:55], v[34:35], s[20:21] op_sel_hi:[1,0]
	v_pk_add_f32 v[4:5], v[18:19], v[4:5]
	v_pk_fma_f32 v[56:57], v[32:33], s[16:17], v[54:55] op_sel:[0,0,1] op_sel_hi:[1,0,0]
	v_pk_fma_f32 v[54:55], v[32:33], s[16:17], v[54:55] op_sel:[0,0,1] op_sel_hi:[1,0,0] neg_lo:[0,0,1] neg_hi:[0,0,1]
	v_pk_add_f32 v[4:5], v[14:15], v[4:5]
	v_pk_add_f32 v[38:39], v[14:15], v[20:21] neg_lo:[0,1] neg_hi:[0,1]
	v_mov_b32_e32 v58, v56
	v_mov_b32_e32 v59, v55
	s_mov_b32 s24, 0xbe903f40
	v_pk_add_f32 v[4:5], v[20:21], v[4:5]
	v_pk_add_f32 v[36:37], v[20:21], v[14:15]
	;; [unrolled: 1-line block ×3, first 2 shown]
	s_mov_b32 s22, 0xbf75a155
	v_pk_mul_f32 v[58:59], v[38:39], s[24:25] op_sel_hi:[1,0]
	v_pk_add_f32 v[4:5], v[8:9], v[4:5]
	v_pk_fma_f32 v[62:63], v[36:37], s[22:23], v[58:59] op_sel:[0,0,1] op_sel_hi:[1,0,0]
	v_pk_fma_f32 v[58:59], v[36:37], s[22:23], v[58:59] op_sel:[0,0,1] op_sel_hi:[1,0,0] neg_lo:[0,0,1] neg_hi:[0,0,1]
	v_pk_add_f32 v[4:5], v[16:17], v[4:5]
	v_mov_b32_e32 v64, v62
	v_mov_b32_e32 v65, v59
	v_pk_add_f32 v[4:5], v[22:23], v[4:5]
	v_pk_add_f32 v[44:45], v[64:65], v[44:45]
	v_pk_add_f32 v[4:5], v[60:61], v[4:5]
	ds_write2_b64 v72, v[4:5], v[44:45] offset1:99
	v_pk_mul_f32 v[4:5], v[10:11], s[26:27] op_sel_hi:[1,0]
	v_pk_mul_f32 v[12:13], v[26:27], s[20:21] op_sel_hi:[1,0]
	v_pk_fma_f32 v[6:7], v[2:3], s[2:3], v[4:5] op_sel:[0,0,1] op_sel_hi:[1,0,0]
	v_pk_fma_f32 v[4:5], v[2:3], s[2:3], v[4:5] op_sel:[0,0,1] op_sel_hi:[1,0,0] neg_lo:[0,0,1] neg_hi:[0,0,1]
	v_mov_b32_e32 v8, v6
	v_mov_b32_e32 v9, v5
	v_pk_fma_f32 v[14:15], v[24:25], s[16:17], v[12:13] op_sel:[0,0,1] op_sel_hi:[1,0,0]
	v_pk_fma_f32 v[12:13], v[24:25], s[16:17], v[12:13] op_sel:[0,0,1] op_sel_hi:[1,0,0] neg_lo:[0,0,1] neg_hi:[0,0,1]
	v_pk_add_f32 v[8:9], v[0:1], v[8:9]
	v_mov_b32_e32 v16, v14
	v_mov_b32_e32 v17, v13
	s_mov_b32 s26, 0x3e903f40
	v_pk_add_f32 v[8:9], v[16:17], v[8:9]
	v_pk_mul_f32 v[16:17], v[30:31], s[26:27] op_sel_hi:[1,0]
	s_mov_b32 s28, 0x3f7d64f0
	v_pk_fma_f32 v[18:19], v[28:29], s[22:23], v[16:17] op_sel:[0,0,1] op_sel_hi:[1,0,0]
	v_pk_fma_f32 v[16:17], v[28:29], s[22:23], v[16:17] op_sel:[0,0,1] op_sel_hi:[1,0,0] neg_lo:[0,0,1] neg_hi:[0,0,1]
	v_mov_b32_e32 v20, v18
	v_mov_b32_e32 v21, v17
	v_pk_add_f32 v[8:9], v[20:21], v[8:9]
	v_pk_mul_f32 v[20:21], v[34:35], s[28:29] op_sel_hi:[1,0]
	s_mov_b32 s30, 0x3f0a6770
	v_pk_fma_f32 v[22:23], v[32:33], s[10:11], v[20:21] op_sel:[0,0,1] op_sel_hi:[1,0,0]
	v_pk_fma_f32 v[20:21], v[32:33], s[10:11], v[20:21] op_sel:[0,0,1] op_sel_hi:[1,0,0] neg_lo:[0,0,1] neg_hi:[0,0,1]
	v_mov_b32_e32 v44, v22
	v_mov_b32_e32 v45, v21
	v_pk_add_f32 v[8:9], v[44:45], v[8:9]
	v_pk_mul_f32 v[44:45], v[38:39], s[30:31] op_sel_hi:[1,0]
	v_pk_mul_f32 v[70:71], v[26:27], s[26:27] op_sel_hi:[1,0]
	v_pk_fma_f32 v[60:61], v[36:37], s[8:9], v[44:45] op_sel:[0,0,1] op_sel_hi:[1,0,0]
	v_pk_fma_f32 v[44:45], v[36:37], s[8:9], v[44:45] op_sel:[0,0,1] op_sel_hi:[1,0,0] neg_lo:[0,0,1] neg_hi:[0,0,1]
	v_mov_b32_e32 v64, v60
	v_mov_b32_e32 v65, v45
	v_pk_add_f32 v[8:9], v[64:65], v[8:9]
	v_pk_mul_f32 v[64:65], v[10:11], s[14:15] op_sel_hi:[1,0]
	v_pk_fma_f32 v[96:97], v[24:25], s[22:23], v[70:71] op_sel:[0,0,1] op_sel_hi:[1,0,0]
	v_pk_fma_f32 v[66:67], v[2:3], s[10:11], v[64:65] op_sel:[0,0,1] op_sel_hi:[1,0,0]
	v_pk_fma_f32 v[64:65], v[2:3], s[10:11], v[64:65] op_sel:[0,0,1] op_sel_hi:[1,0,0] neg_lo:[0,0,1] neg_hi:[0,0,1]
	v_mov_b32_e32 v68, v66
	v_mov_b32_e32 v69, v65
	v_pk_fma_f32 v[70:71], v[24:25], s[22:23], v[70:71] op_sel:[0,0,1] op_sel_hi:[1,0,0] neg_lo:[0,0,1] neg_hi:[0,0,1]
	v_pk_add_f32 v[68:69], v[0:1], v[68:69]
	v_mov_b32_e32 v98, v96
	v_mov_b32_e32 v99, v71
	s_mov_b32 s26, 0x3f68dda4
	v_pk_add_f32 v[68:69], v[98:99], v[68:69]
	v_pk_mul_f32 v[98:99], v[30:31], s[26:27] op_sel_hi:[1,0]
	v_add_u32_e32 v5, 0x400, v72
	v_pk_fma_f32 v[100:101], v[28:29], s[2:3], v[98:99] op_sel:[0,0,1] op_sel_hi:[1,0,0]
	v_pk_fma_f32 v[98:99], v[28:29], s[2:3], v[98:99] op_sel:[0,0,1] op_sel_hi:[1,0,0] neg_lo:[0,0,1] neg_hi:[0,0,1]
	v_mov_b32_e32 v102, v100
	v_mov_b32_e32 v103, v99
	v_pk_add_f32 v[68:69], v[102:103], v[68:69]
	v_pk_mul_f32 v[102:103], v[34:35], s[18:19] op_sel_hi:[1,0]
	v_pk_mul_f32 v[112:113], v[26:27], s[28:29] op_sel_hi:[1,0]
	v_pk_fma_f32 v[104:105], v[32:33], s[8:9], v[102:103] op_sel:[0,0,1] op_sel_hi:[1,0,0]
	v_pk_fma_f32 v[102:103], v[32:33], s[8:9], v[102:103] op_sel:[0,0,1] op_sel_hi:[1,0,0] neg_lo:[0,0,1] neg_hi:[0,0,1]
	v_mov_b32_e32 v106, v104
	v_mov_b32_e32 v107, v103
	v_pk_add_f32 v[68:69], v[106:107], v[68:69]
	v_pk_mul_f32 v[106:107], v[38:39], s[20:21] op_sel_hi:[1,0]
	v_pk_fma_f32 v[114:115], v[24:25], s[10:11], v[112:113] op_sel:[0,0,1] op_sel_hi:[1,0,0]
	v_pk_fma_f32 v[108:109], v[36:37], s[16:17], v[106:107] op_sel:[0,0,1] op_sel_hi:[1,0,0]
	v_pk_fma_f32 v[106:107], v[36:37], s[16:17], v[106:107] op_sel:[0,0,1] op_sel_hi:[1,0,0] neg_lo:[0,0,1] neg_hi:[0,0,1]
	v_mov_b32_e32 v110, v108
	v_mov_b32_e32 v111, v107
	v_pk_add_f32 v[68:69], v[110:111], v[68:69]
	ds_write2_b64 v5, v[8:9], v[68:69] offset0:70 offset1:169
	v_pk_mul_f32 v[8:9], v[10:11], s[20:21] op_sel_hi:[1,0]
	v_pk_fma_f32 v[112:113], v[24:25], s[10:11], v[112:113] op_sel:[0,0,1] op_sel_hi:[1,0,0] neg_lo:[0,0,1] neg_hi:[0,0,1]
	v_pk_fma_f32 v[68:69], v[2:3], s[16:17], v[8:9] op_sel:[0,0,1] op_sel_hi:[1,0,0]
	v_pk_fma_f32 v[8:9], v[2:3], s[16:17], v[8:9] op_sel:[0,0,1] op_sel_hi:[1,0,0] neg_lo:[0,0,1] neg_hi:[0,0,1]
	v_mov_b32_e32 v110, v68
	v_mov_b32_e32 v111, v9
	v_pk_add_f32 v[110:111], v[0:1], v[110:111]
	v_mov_b32_e32 v116, v114
	v_mov_b32_e32 v117, v113
	v_pk_add_f32 v[110:111], v[116:117], v[110:111]
	v_pk_mul_f32 v[116:117], v[30:31], s[18:19] op_sel_hi:[1,0]
	v_pk_mul_f32 v[10:11], v[10:11], s[24:25] op_sel_hi:[1,0]
	v_pk_fma_f32 v[118:119], v[28:29], s[8:9], v[116:117] op_sel:[0,0,1] op_sel_hi:[1,0,0]
	v_pk_fma_f32 v[116:117], v[28:29], s[8:9], v[116:117] op_sel:[0,0,1] op_sel_hi:[1,0,0] neg_lo:[0,0,1] neg_hi:[0,0,1]
	v_mov_b32_e32 v120, v118
	v_mov_b32_e32 v121, v117
	v_pk_add_f32 v[110:111], v[120:121], v[110:111]
	v_pk_mul_f32 v[120:121], v[34:35], s[24:25] op_sel_hi:[1,0]
	v_pk_mul_f32 v[26:27], v[26:27], s[30:31] op_sel_hi:[1,0]
	v_pk_fma_f32 v[122:123], v[32:33], s[22:23], v[120:121] op_sel:[0,0,1] op_sel_hi:[1,0,0]
	v_pk_fma_f32 v[120:121], v[32:33], s[22:23], v[120:121] op_sel:[0,0,1] op_sel_hi:[1,0,0] neg_lo:[0,0,1] neg_hi:[0,0,1]
	v_mov_b32_e32 v124, v122
	v_mov_b32_e32 v125, v121
	v_pk_add_f32 v[110:111], v[124:125], v[110:111]
	v_pk_mul_f32 v[124:125], v[38:39], s[26:27] op_sel_hi:[1,0]
	v_pk_fma_f32 v[130:131], v[24:25], s[8:9], v[26:27] op_sel:[0,0,1] op_sel_hi:[1,0,0]
	v_pk_fma_f32 v[126:127], v[36:37], s[2:3], v[124:125] op_sel:[0,0,1] op_sel_hi:[1,0,0]
	v_pk_fma_f32 v[124:125], v[36:37], s[2:3], v[124:125] op_sel:[0,0,1] op_sel_hi:[1,0,0] neg_lo:[0,0,1] neg_hi:[0,0,1]
	v_mov_b32_e32 v128, v126
	v_mov_b32_e32 v129, v125
	v_pk_add_f32 v[110:111], v[128:129], v[110:111]
	v_pk_fma_f32 v[128:129], v[2:3], s[22:23], v[10:11] op_sel:[0,0,1] op_sel_hi:[1,0,0]
	v_pk_fma_f32 v[2:3], v[2:3], s[22:23], v[10:11] op_sel:[0,0,1] op_sel_hi:[1,0,0] neg_lo:[0,0,1] neg_hi:[0,0,1]
	v_mov_b32_e32 v10, v128
	v_mov_b32_e32 v11, v3
	v_pk_fma_f32 v[24:25], v[24:25], s[8:9], v[26:27] op_sel:[0,0,1] op_sel_hi:[1,0,0] neg_lo:[0,0,1] neg_hi:[0,0,1]
	v_pk_add_f32 v[10:11], v[0:1], v[10:11]
	v_mov_b32_e32 v26, v130
	v_mov_b32_e32 v27, v25
	v_pk_add_f32 v[10:11], v[26:27], v[10:11]
	v_pk_mul_f32 v[26:27], v[30:31], s[20:21] op_sel_hi:[1,0]
	v_add_u32_e32 v3, 0x800, v72
	v_pk_fma_f32 v[30:31], v[28:29], s[16:17], v[26:27] op_sel:[0,0,1] op_sel_hi:[1,0,0]
	v_pk_fma_f32 v[26:27], v[28:29], s[16:17], v[26:27] op_sel:[0,0,1] op_sel_hi:[1,0,0] neg_lo:[0,0,1] neg_hi:[0,0,1]
	v_mov_b32_e32 v28, v30
	v_mov_b32_e32 v29, v27
	v_pk_add_f32 v[10:11], v[28:29], v[10:11]
	v_pk_mul_f32 v[28:29], v[34:35], s[26:27] op_sel_hi:[1,0]
	v_mov_b32_e32 v9, v69
	v_pk_fma_f32 v[34:35], v[32:33], s[2:3], v[28:29] op_sel:[0,0,1] op_sel_hi:[1,0,0]
	v_pk_fma_f32 v[28:29], v[32:33], s[2:3], v[28:29] op_sel:[0,0,1] op_sel_hi:[1,0,0] neg_lo:[0,0,1] neg_hi:[0,0,1]
	v_mov_b32_e32 v32, v34
	v_mov_b32_e32 v33, v29
	v_pk_add_f32 v[10:11], v[32:33], v[10:11]
	v_pk_mul_f32 v[32:33], v[38:39], s[14:15] op_sel_hi:[1,0]
	v_mov_b32_e32 v25, v131
	v_pk_fma_f32 v[38:39], v[36:37], s[10:11], v[32:33] op_sel:[0,0,1] op_sel_hi:[1,0,0]
	v_pk_fma_f32 v[32:33], v[36:37], s[10:11], v[32:33] op_sel:[0,0,1] op_sel_hi:[1,0,0] neg_lo:[0,0,1] neg_hi:[0,0,1]
	v_mov_b32_e32 v36, v38
	v_mov_b32_e32 v37, v33
	v_pk_add_f32 v[10:11], v[36:37], v[10:11]
	ds_write2_b64 v3, v[110:111], v[10:11] offset0:140 offset1:239
	v_mov_b32_e32 v3, v129
	v_pk_add_f32 v[2:3], v[0:1], v[2:3]
	v_pk_add_f32 v[8:9], v[0:1], v[8:9]
	v_mov_b32_e32 v113, v115
	v_pk_add_f32 v[2:3], v[24:25], v[2:3]
	v_mov_b32_e32 v27, v31
	;; [unrolled: 2-line block ×7, first 2 shown]
	v_pk_add_f32 v[2:3], v[32:33], v[2:3]
	v_pk_add_f32 v[8:9], v[124:125], v[8:9]
	v_add_u32_e32 v5, 0x1000, v72
	ds_write2_b64 v5, v[2:3], v[8:9] offset0:82 offset1:181
	v_mov_b32_e32 v65, v67
	v_mov_b32_e32 v5, v7
	;; [unrolled: 1-line block ×3, first 2 shown]
	v_pk_add_f32 v[2:3], v[0:1], v[64:65]
	v_mov_b32_e32 v71, v97
	v_pk_add_f32 v[4:5], v[0:1], v[4:5]
	v_mov_b32_e32 v13, v15
	v_pk_add_f32 v[0:1], v[0:1], v[40:41]
	v_mov_b32_e32 v47, v49
	v_pk_add_f32 v[2:3], v[70:71], v[2:3]
	v_mov_b32_e32 v99, v101
	v_pk_add_f32 v[4:5], v[12:13], v[4:5]
	v_mov_b32_e32 v17, v19
	v_pk_add_f32 v[0:1], v[46:47], v[0:1]
	v_mov_b32_e32 v51, v53
	v_pk_add_f32 v[2:3], v[98:99], v[2:3]
	v_mov_b32_e32 v103, v105
	v_pk_add_f32 v[4:5], v[16:17], v[4:5]
	v_mov_b32_e32 v21, v23
	v_pk_add_f32 v[0:1], v[50:51], v[0:1]
	v_mov_b32_e32 v55, v57
	v_pk_add_f32 v[2:3], v[102:103], v[2:3]
	v_mov_b32_e32 v107, v109
	v_pk_add_f32 v[4:5], v[20:21], v[4:5]
	v_mov_b32_e32 v45, v61
	v_pk_add_f32 v[0:1], v[54:55], v[0:1]
	v_mov_b32_e32 v59, v63
	v_pk_add_f32 v[2:3], v[106:107], v[2:3]
	v_pk_add_f32 v[4:5], v[44:45], v[4:5]
	v_add_u32_e32 v6, 0x1800, v72
	v_pk_add_f32 v[0:1], v[58:59], v[0:1]
	ds_write2_b64 v6, v[2:3], v[4:5] offset0:24 offset1:123
	ds_write_b64 v72, v[0:1] offset:7920
.LBB0_17:
	s_or_b64 exec, exec, s[0:1]
	s_waitcnt lgkmcnt(0)
	s_barrier
	ds_read2_b64 v[0:3], v72 offset1:121
	v_mad_u64_u32 v[10:11], s[0:1], s6, v84, 0
	v_mov_b32_e32 v4, v11
	v_mad_u64_u32 v[4:5], s[0:1], s7, v84, v[4:5]
	v_mov_b32_e32 v11, v4
	s_waitcnt lgkmcnt(0)
	v_mul_f32_e32 v4, v95, v1
	v_fmac_f32_e32 v4, v94, v0
	v_mul_f32_e32 v0, v95, v0
	s_mov_b32 s0, 0xa3611655
	v_fma_f32 v0, v94, v1, -v0
	s_mov_b32 s1, 0x3f4e1709
	v_cvt_f64_f32_e32 v[0:1], v0
	v_cvt_f64_f32_e32 v[4:5], v4
	v_mul_f64 v[0:1], v[0:1], s[0:1]
	v_mul_f64 v[4:5], v[4:5], s[0:1]
	v_cvt_f32_f64_e32 v13, v[0:1]
	v_mad_u64_u32 v[0:1], s[2:3], s4, v76, 0
	v_cvt_f32_f64_e32 v12, v[4:5]
	v_mov_b32_e32 v4, v1
	v_add_u32_e32 v1, 0x400, v72
	v_mad_u64_u32 v[14:15], s[2:3], s5, v76, v[4:5]
	ds_read2_b64 v[4:7], v1 offset0:114 offset1:235
	v_mov_b32_e32 v8, s12
	v_mov_b32_e32 v9, s13
	;; [unrolled: 1-line block ×3, first 2 shown]
	v_lshl_add_u64 v[8:9], v[10:11], 3, v[8:9]
	v_lshl_add_u64 v[0:1], v[0:1], 3, v[8:9]
	s_waitcnt lgkmcnt(0)
	v_mul_f32_e32 v8, v93, v7
	v_fmac_f32_e32 v8, v92, v6
	v_mul_f32_e32 v6, v93, v6
	v_fma_f32 v6, v92, v7, -v6
	v_cvt_f64_f32_e32 v[6:7], v6
	v_cvt_f64_f32_e32 v[8:9], v8
	v_mul_f64 v[6:7], v[6:7], s[0:1]
	v_mul_f64 v[8:9], v[8:9], s[0:1]
	v_cvt_f32_f64_e32 v11, v[6:7]
	v_add_u32_e32 v6, 0x1400, v72
	v_cvt_f32_f64_e32 v10, v[8:9]
	ds_read2_b64 v[6:9], v6 offset0:86 offset1:207
	global_store_dwordx2 v[0:1], v[12:13], off
	v_mov_b32_e32 v12, 0xb58
	v_mad_u64_u32 v[0:1], s[2:3], s4, v12, v[0:1]
	s_mul_i32 s6, s5, 0xb58
	v_add_u32_e32 v1, s6, v1
	global_store_dwordx2 v[0:1], v[10:11], off
	s_waitcnt lgkmcnt(0)
	v_mul_f32_e32 v10, v89, v7
	v_fmac_f32_e32 v10, v88, v6
	v_mul_f32_e32 v6, v89, v6
	v_fma_f32 v6, v88, v7, -v6
	v_cvt_f64_f32_e32 v[10:11], v10
	v_cvt_f64_f32_e32 v[6:7], v6
	v_mul_f64 v[10:11], v[10:11], s[0:1]
	v_mul_f64 v[6:7], v[6:7], s[0:1]
	v_cvt_f32_f64_e32 v10, v[10:11]
	v_cvt_f32_f64_e32 v11, v[6:7]
	v_mul_f32_e32 v6, v91, v3
	v_fmac_f32_e32 v6, v90, v2
	v_mul_f32_e32 v2, v91, v2
	v_mad_u64_u32 v[0:1], s[2:3], s4, v12, v[0:1]
	v_fma_f32 v2, v90, v3, -v2
	v_add_u32_e32 v1, s6, v1
	v_cvt_f64_f32_e32 v[6:7], v6
	v_cvt_f64_f32_e32 v[2:3], v2
	v_mov_b32_e32 v13, 0xffffed18
	global_store_dwordx2 v[0:1], v[10:11], off
	v_mul_f64 v[6:7], v[6:7], s[0:1]
	v_mul_f64 v[2:3], v[2:3], s[0:1]
	v_mad_u64_u32 v[10:11], s[2:3], s4, v13, v[0:1]
	v_add_u32_e32 v0, 0xc00, v72
	v_cvt_f32_f64_e32 v6, v[6:7]
	v_cvt_f32_f64_e32 v7, v[2:3]
	ds_read2_b64 v[0:3], v0 offset0:100 offset1:221
	s_mul_i32 s2, s5, 0xffffed18
	s_sub_i32 s5, s2, s4
	v_add_u32_e32 v11, s5, v11
	global_store_dwordx2 v[10:11], v[6:7], off
	s_waitcnt lgkmcnt(0)
	v_mul_f32_e32 v6, v83, v1
	v_fmac_f32_e32 v6, v82, v0
	v_mul_f32_e32 v0, v83, v0
	v_fma_f32 v0, v82, v1, -v0
	v_cvt_f64_f32_e32 v[6:7], v6
	v_cvt_f64_f32_e32 v[0:1], v0
	v_mul_f64 v[6:7], v[6:7], s[0:1]
	v_mul_f64 v[0:1], v[0:1], s[0:1]
	v_cvt_f32_f64_e32 v6, v[6:7]
	v_cvt_f32_f64_e32 v7, v[0:1]
	v_mad_u64_u32 v[0:1], s[2:3], s4, v12, v[10:11]
	v_add_u32_e32 v1, s6, v1
	global_store_dwordx2 v[0:1], v[6:7], off
	v_mul_f32_e32 v6, v81, v9
	v_fmac_f32_e32 v6, v80, v8
	v_cvt_f64_f32_e32 v[6:7], v6
	v_mul_f64 v[6:7], v[6:7], s[0:1]
	v_cvt_f32_f64_e32 v6, v[6:7]
	v_mul_f32_e32 v7, v81, v8
	v_fma_f32 v7, v80, v9, -v7
	v_cvt_f64_f32_e32 v[8:9], v7
	v_mul_f64 v[8:9], v[8:9], s[0:1]
	v_mad_u64_u32 v[0:1], s[2:3], s4, v12, v[0:1]
	v_cvt_f32_f64_e32 v7, v[8:9]
	v_add_u32_e32 v1, s6, v1
	global_store_dwordx2 v[0:1], v[6:7], off
	v_mul_f32_e32 v6, v79, v5
	v_fmac_f32_e32 v6, v78, v4
	v_mul_f32_e32 v4, v79, v4
	v_fma_f32 v4, v78, v5, -v4
	v_cvt_f64_f32_e32 v[6:7], v6
	v_cvt_f64_f32_e32 v[4:5], v4
	v_mul_f64 v[6:7], v[6:7], s[0:1]
	v_mul_f64 v[4:5], v[4:5], s[0:1]
	v_cvt_f32_f64_e32 v6, v[6:7]
	v_cvt_f32_f64_e32 v7, v[4:5]
	v_mul_f32_e32 v4, v87, v3
	v_fmac_f32_e32 v4, v86, v2
	v_mul_f32_e32 v2, v87, v2
	v_fma_f32 v2, v86, v3, -v2
	v_cvt_f64_f32_e32 v[4:5], v4
	v_cvt_f64_f32_e32 v[2:3], v2
	v_mul_f64 v[4:5], v[4:5], s[0:1]
	v_mul_f64 v[2:3], v[2:3], s[0:1]
	v_cvt_f32_f64_e32 v4, v[4:5]
	v_cvt_f32_f64_e32 v5, v[2:3]
	ds_read_b64 v[2:3], v72 offset:7744
	v_mad_u64_u32 v[0:1], s[2:3], s4, v13, v[0:1]
	v_add_u32_e32 v1, s5, v1
	global_store_dwordx2 v[0:1], v[6:7], off
	v_mad_u64_u32 v[0:1], s[2:3], s4, v12, v[0:1]
	v_add_u32_e32 v1, s6, v1
	global_store_dwordx2 v[0:1], v[4:5], off
	s_waitcnt lgkmcnt(0)
	v_mul_f32_e32 v4, v75, v3
	v_fmac_f32_e32 v4, v74, v2
	v_mul_f32_e32 v2, v75, v2
	v_fma_f32 v2, v74, v3, -v2
	v_cvt_f64_f32_e32 v[4:5], v4
	v_cvt_f64_f32_e32 v[2:3], v2
	v_mul_f64 v[4:5], v[4:5], s[0:1]
	v_mul_f64 v[2:3], v[2:3], s[0:1]
	v_mad_u64_u32 v[0:1], s[0:1], s4, v12, v[0:1]
	v_cvt_f32_f64_e32 v4, v[4:5]
	v_cvt_f32_f64_e32 v5, v[2:3]
	v_add_u32_e32 v1, s6, v1
	global_store_dwordx2 v[0:1], v[4:5], off
.LBB0_18:
	s_endpgm
	.section	.rodata,"a",@progbits
	.p2align	6, 0x0
	.amdhsa_kernel bluestein_single_fwd_len1089_dim1_sp_op_CI_CI
		.amdhsa_group_segment_fixed_size 8712
		.amdhsa_private_segment_fixed_size 0
		.amdhsa_kernarg_size 104
		.amdhsa_user_sgpr_count 2
		.amdhsa_user_sgpr_dispatch_ptr 0
		.amdhsa_user_sgpr_queue_ptr 0
		.amdhsa_user_sgpr_kernarg_segment_ptr 1
		.amdhsa_user_sgpr_dispatch_id 0
		.amdhsa_user_sgpr_kernarg_preload_length 0
		.amdhsa_user_sgpr_kernarg_preload_offset 0
		.amdhsa_user_sgpr_private_segment_size 0
		.amdhsa_uses_dynamic_stack 0
		.amdhsa_enable_private_segment 0
		.amdhsa_system_sgpr_workgroup_id_x 1
		.amdhsa_system_sgpr_workgroup_id_y 0
		.amdhsa_system_sgpr_workgroup_id_z 0
		.amdhsa_system_sgpr_workgroup_info 0
		.amdhsa_system_vgpr_workitem_id 0
		.amdhsa_next_free_vgpr 190
		.amdhsa_next_free_sgpr 42
		.amdhsa_accum_offset 192
		.amdhsa_reserve_vcc 1
		.amdhsa_float_round_mode_32 0
		.amdhsa_float_round_mode_16_64 0
		.amdhsa_float_denorm_mode_32 3
		.amdhsa_float_denorm_mode_16_64 3
		.amdhsa_dx10_clamp 1
		.amdhsa_ieee_mode 1
		.amdhsa_fp16_overflow 0
		.amdhsa_tg_split 0
		.amdhsa_exception_fp_ieee_invalid_op 0
		.amdhsa_exception_fp_denorm_src 0
		.amdhsa_exception_fp_ieee_div_zero 0
		.amdhsa_exception_fp_ieee_overflow 0
		.amdhsa_exception_fp_ieee_underflow 0
		.amdhsa_exception_fp_ieee_inexact 0
		.amdhsa_exception_int_div_zero 0
	.end_amdhsa_kernel
	.text
.Lfunc_end0:
	.size	bluestein_single_fwd_len1089_dim1_sp_op_CI_CI, .Lfunc_end0-bluestein_single_fwd_len1089_dim1_sp_op_CI_CI
                                        ; -- End function
	.section	.AMDGPU.csdata,"",@progbits
; Kernel info:
; codeLenInByte = 13464
; NumSgprs: 48
; NumVgprs: 190
; NumAgprs: 0
; TotalNumVgprs: 190
; ScratchSize: 0
; MemoryBound: 0
; FloatMode: 240
; IeeeMode: 1
; LDSByteSize: 8712 bytes/workgroup (compile time only)
; SGPRBlocks: 5
; VGPRBlocks: 23
; NumSGPRsForWavesPerEU: 48
; NumVGPRsForWavesPerEU: 190
; AccumOffset: 192
; Occupancy: 2
; WaveLimiterHint : 1
; COMPUTE_PGM_RSRC2:SCRATCH_EN: 0
; COMPUTE_PGM_RSRC2:USER_SGPR: 2
; COMPUTE_PGM_RSRC2:TRAP_HANDLER: 0
; COMPUTE_PGM_RSRC2:TGID_X_EN: 1
; COMPUTE_PGM_RSRC2:TGID_Y_EN: 0
; COMPUTE_PGM_RSRC2:TGID_Z_EN: 0
; COMPUTE_PGM_RSRC2:TIDIG_COMP_CNT: 0
; COMPUTE_PGM_RSRC3_GFX90A:ACCUM_OFFSET: 47
; COMPUTE_PGM_RSRC3_GFX90A:TG_SPLIT: 0
	.text
	.p2alignl 6, 3212836864
	.fill 256, 4, 3212836864
	.type	__hip_cuid_53e3b6ecb1e88ad5,@object ; @__hip_cuid_53e3b6ecb1e88ad5
	.section	.bss,"aw",@nobits
	.globl	__hip_cuid_53e3b6ecb1e88ad5
__hip_cuid_53e3b6ecb1e88ad5:
	.byte	0                               ; 0x0
	.size	__hip_cuid_53e3b6ecb1e88ad5, 1

	.ident	"AMD clang version 19.0.0git (https://github.com/RadeonOpenCompute/llvm-project roc-6.4.0 25133 c7fe45cf4b819c5991fe208aaa96edf142730f1d)"
	.section	".note.GNU-stack","",@progbits
	.addrsig
	.addrsig_sym __hip_cuid_53e3b6ecb1e88ad5
	.amdgpu_metadata
---
amdhsa.kernels:
  - .agpr_count:     0
    .args:
      - .actual_access:  read_only
        .address_space:  global
        .offset:         0
        .size:           8
        .value_kind:     global_buffer
      - .actual_access:  read_only
        .address_space:  global
        .offset:         8
        .size:           8
        .value_kind:     global_buffer
      - .actual_access:  read_only
        .address_space:  global
        .offset:         16
        .size:           8
        .value_kind:     global_buffer
      - .actual_access:  read_only
        .address_space:  global
        .offset:         24
        .size:           8
        .value_kind:     global_buffer
      - .actual_access:  read_only
        .address_space:  global
        .offset:         32
        .size:           8
        .value_kind:     global_buffer
      - .offset:         40
        .size:           8
        .value_kind:     by_value
      - .address_space:  global
        .offset:         48
        .size:           8
        .value_kind:     global_buffer
      - .address_space:  global
        .offset:         56
        .size:           8
        .value_kind:     global_buffer
      - .address_space:  global
        .offset:         64
        .size:           8
        .value_kind:     global_buffer
      - .address_space:  global
        .offset:         72
        .size:           8
        .value_kind:     global_buffer
      - .offset:         80
        .size:           4
        .value_kind:     by_value
      - .address_space:  global
        .offset:         88
        .size:           8
        .value_kind:     global_buffer
      - .address_space:  global
        .offset:         96
        .size:           8
        .value_kind:     global_buffer
    .group_segment_fixed_size: 8712
    .kernarg_segment_align: 8
    .kernarg_segment_size: 104
    .language:       OpenCL C
    .language_version:
      - 2
      - 0
    .max_flat_workgroup_size: 121
    .name:           bluestein_single_fwd_len1089_dim1_sp_op_CI_CI
    .private_segment_fixed_size: 0
    .sgpr_count:     48
    .sgpr_spill_count: 0
    .symbol:         bluestein_single_fwd_len1089_dim1_sp_op_CI_CI.kd
    .uniform_work_group_size: 1
    .uses_dynamic_stack: false
    .vgpr_count:     190
    .vgpr_spill_count: 0
    .wavefront_size: 64
amdhsa.target:   amdgcn-amd-amdhsa--gfx950
amdhsa.version:
  - 1
  - 2
...

	.end_amdgpu_metadata
